;; amdgpu-corpus repo=ROCm/rocFFT kind=compiled arch=gfx906 opt=O3
	.text
	.amdgcn_target "amdgcn-amd-amdhsa--gfx906"
	.amdhsa_code_object_version 6
	.protected	fft_rtc_fwd_len1734_factors_17_17_6_wgs_102_tpt_102_halfLds_half_op_CI_CI_unitstride_sbrr_dirReg ; -- Begin function fft_rtc_fwd_len1734_factors_17_17_6_wgs_102_tpt_102_halfLds_half_op_CI_CI_unitstride_sbrr_dirReg
	.globl	fft_rtc_fwd_len1734_factors_17_17_6_wgs_102_tpt_102_halfLds_half_op_CI_CI_unitstride_sbrr_dirReg
	.p2align	8
	.type	fft_rtc_fwd_len1734_factors_17_17_6_wgs_102_tpt_102_halfLds_half_op_CI_CI_unitstride_sbrr_dirReg,@function
fft_rtc_fwd_len1734_factors_17_17_6_wgs_102_tpt_102_halfLds_half_op_CI_CI_unitstride_sbrr_dirReg: ; @fft_rtc_fwd_len1734_factors_17_17_6_wgs_102_tpt_102_halfLds_half_op_CI_CI_unitstride_sbrr_dirReg
; %bb.0:
	s_load_dwordx4 s[12:15], s[4:5], 0x58
	s_load_dwordx4 s[8:11], s[4:5], 0x0
	;; [unrolled: 1-line block ×3, first 2 shown]
	v_mul_u32_u24_e32 v1, 0x283, v0
	v_mov_b32_e32 v7, 0
	v_mov_b32_e32 v5, 0
	s_waitcnt lgkmcnt(0)
	v_cmp_lt_u64_e64 s[0:1], s[10:11], 2
	v_add_u32_sdwa v9, s6, v1 dst_sel:DWORD dst_unused:UNUSED_PAD src0_sel:DWORD src1_sel:WORD_1
	v_mov_b32_e32 v10, v7
	s_and_b64 vcc, exec, s[0:1]
	v_mov_b32_e32 v6, 0
	s_cbranch_vccnz .LBB0_8
; %bb.1:
	s_load_dwordx2 s[0:1], s[4:5], 0x10
	s_add_u32 s2, s18, 8
	s_addc_u32 s3, s19, 0
	s_add_u32 s6, s16, 8
	s_addc_u32 s7, s17, 0
	v_mov_b32_e32 v5, 0
	s_waitcnt lgkmcnt(0)
	s_add_u32 s20, s0, 8
	v_mov_b32_e32 v6, 0
	v_mov_b32_e32 v1, v5
	s_addc_u32 s21, s1, 0
	s_mov_b64 s[22:23], 1
	v_mov_b32_e32 v2, v6
.LBB0_2:                                ; =>This Inner Loop Header: Depth=1
	s_load_dwordx2 s[24:25], s[20:21], 0x0
                                        ; implicit-def: $vgpr3_vgpr4
	s_waitcnt lgkmcnt(0)
	v_or_b32_e32 v8, s25, v10
	v_cmp_ne_u64_e32 vcc, 0, v[7:8]
	s_and_saveexec_b64 s[0:1], vcc
	s_xor_b64 s[26:27], exec, s[0:1]
	s_cbranch_execz .LBB0_4
; %bb.3:                                ;   in Loop: Header=BB0_2 Depth=1
	v_cvt_f32_u32_e32 v3, s24
	v_cvt_f32_u32_e32 v4, s25
	s_sub_u32 s0, 0, s24
	s_subb_u32 s1, 0, s25
	v_mac_f32_e32 v3, 0x4f800000, v4
	v_rcp_f32_e32 v3, v3
	v_mul_f32_e32 v3, 0x5f7ffffc, v3
	v_mul_f32_e32 v4, 0x2f800000, v3
	v_trunc_f32_e32 v4, v4
	v_mac_f32_e32 v3, 0xcf800000, v4
	v_cvt_u32_f32_e32 v4, v4
	v_cvt_u32_f32_e32 v3, v3
	v_mul_lo_u32 v8, s0, v4
	v_mul_hi_u32 v11, s0, v3
	v_mul_lo_u32 v13, s1, v3
	v_mul_lo_u32 v12, s0, v3
	v_add_u32_e32 v8, v11, v8
	v_add_u32_e32 v8, v8, v13
	v_mul_hi_u32 v11, v3, v12
	v_mul_lo_u32 v13, v3, v8
	v_mul_hi_u32 v15, v3, v8
	v_mul_hi_u32 v14, v4, v12
	v_mul_lo_u32 v12, v4, v12
	v_mul_hi_u32 v16, v4, v8
	v_add_co_u32_e32 v11, vcc, v11, v13
	v_addc_co_u32_e32 v13, vcc, 0, v15, vcc
	v_mul_lo_u32 v8, v4, v8
	v_add_co_u32_e32 v11, vcc, v11, v12
	v_addc_co_u32_e32 v11, vcc, v13, v14, vcc
	v_addc_co_u32_e32 v12, vcc, 0, v16, vcc
	v_add_co_u32_e32 v8, vcc, v11, v8
	v_addc_co_u32_e32 v11, vcc, 0, v12, vcc
	v_add_co_u32_e32 v3, vcc, v3, v8
	v_addc_co_u32_e32 v4, vcc, v4, v11, vcc
	v_mul_lo_u32 v8, s0, v4
	v_mul_hi_u32 v11, s0, v3
	v_mul_lo_u32 v12, s1, v3
	v_mul_lo_u32 v13, s0, v3
	v_add_u32_e32 v8, v11, v8
	v_add_u32_e32 v8, v8, v12
	v_mul_lo_u32 v14, v3, v8
	v_mul_hi_u32 v15, v3, v13
	v_mul_hi_u32 v16, v3, v8
	v_mul_hi_u32 v12, v4, v13
	v_mul_lo_u32 v13, v4, v13
	v_mul_hi_u32 v11, v4, v8
	v_add_co_u32_e32 v14, vcc, v15, v14
	v_addc_co_u32_e32 v15, vcc, 0, v16, vcc
	v_mul_lo_u32 v8, v4, v8
	v_add_co_u32_e32 v13, vcc, v14, v13
	v_addc_co_u32_e32 v12, vcc, v15, v12, vcc
	v_addc_co_u32_e32 v11, vcc, 0, v11, vcc
	v_add_co_u32_e32 v8, vcc, v12, v8
	v_addc_co_u32_e32 v11, vcc, 0, v11, vcc
	v_add_co_u32_e32 v8, vcc, v3, v8
	v_addc_co_u32_e32 v11, vcc, v4, v11, vcc
	v_mad_u64_u32 v[3:4], s[0:1], v9, v11, 0
	v_mul_hi_u32 v12, v9, v8
	v_add_co_u32_e32 v13, vcc, v12, v3
	v_addc_co_u32_e32 v14, vcc, 0, v4, vcc
	v_mad_u64_u32 v[3:4], s[0:1], v10, v8, 0
	v_mad_u64_u32 v[11:12], s[0:1], v10, v11, 0
	v_add_co_u32_e32 v3, vcc, v13, v3
	v_addc_co_u32_e32 v3, vcc, v14, v4, vcc
	v_addc_co_u32_e32 v4, vcc, 0, v12, vcc
	v_add_co_u32_e32 v8, vcc, v3, v11
	v_addc_co_u32_e32 v11, vcc, 0, v4, vcc
	v_mul_lo_u32 v12, s25, v8
	v_mul_lo_u32 v13, s24, v11
	v_mad_u64_u32 v[3:4], s[0:1], s24, v8, 0
	v_add3_u32 v4, v4, v13, v12
	v_sub_u32_e32 v12, v10, v4
	v_mov_b32_e32 v13, s25
	v_sub_co_u32_e32 v3, vcc, v9, v3
	v_subb_co_u32_e64 v12, s[0:1], v12, v13, vcc
	v_subrev_co_u32_e64 v13, s[0:1], s24, v3
	v_subbrev_co_u32_e64 v12, s[0:1], 0, v12, s[0:1]
	v_cmp_le_u32_e64 s[0:1], s25, v12
	v_cndmask_b32_e64 v14, 0, -1, s[0:1]
	v_cmp_le_u32_e64 s[0:1], s24, v13
	v_cndmask_b32_e64 v13, 0, -1, s[0:1]
	v_cmp_eq_u32_e64 s[0:1], s25, v12
	v_cndmask_b32_e64 v12, v14, v13, s[0:1]
	v_add_co_u32_e64 v13, s[0:1], 2, v8
	v_addc_co_u32_e64 v14, s[0:1], 0, v11, s[0:1]
	v_add_co_u32_e64 v15, s[0:1], 1, v8
	v_addc_co_u32_e64 v16, s[0:1], 0, v11, s[0:1]
	v_subb_co_u32_e32 v4, vcc, v10, v4, vcc
	v_cmp_ne_u32_e64 s[0:1], 0, v12
	v_cmp_le_u32_e32 vcc, s25, v4
	v_cndmask_b32_e64 v12, v16, v14, s[0:1]
	v_cndmask_b32_e64 v14, 0, -1, vcc
	v_cmp_le_u32_e32 vcc, s24, v3
	v_cndmask_b32_e64 v3, 0, -1, vcc
	v_cmp_eq_u32_e32 vcc, s25, v4
	v_cndmask_b32_e32 v3, v14, v3, vcc
	v_cmp_ne_u32_e32 vcc, 0, v3
	v_cndmask_b32_e64 v3, v15, v13, s[0:1]
	v_cndmask_b32_e32 v4, v11, v12, vcc
	v_cndmask_b32_e32 v3, v8, v3, vcc
.LBB0_4:                                ;   in Loop: Header=BB0_2 Depth=1
	s_andn2_saveexec_b64 s[0:1], s[26:27]
	s_cbranch_execz .LBB0_6
; %bb.5:                                ;   in Loop: Header=BB0_2 Depth=1
	v_cvt_f32_u32_e32 v3, s24
	s_sub_i32 s26, 0, s24
	v_rcp_iflag_f32_e32 v3, v3
	v_mul_f32_e32 v3, 0x4f7ffffe, v3
	v_cvt_u32_f32_e32 v3, v3
	v_mul_lo_u32 v4, s26, v3
	v_mul_hi_u32 v4, v3, v4
	v_add_u32_e32 v3, v3, v4
	v_mul_hi_u32 v3, v9, v3
	v_mul_lo_u32 v4, v3, s24
	v_add_u32_e32 v8, 1, v3
	v_sub_u32_e32 v4, v9, v4
	v_subrev_u32_e32 v11, s24, v4
	v_cmp_le_u32_e32 vcc, s24, v4
	v_cndmask_b32_e32 v4, v4, v11, vcc
	v_cndmask_b32_e32 v3, v3, v8, vcc
	v_add_u32_e32 v8, 1, v3
	v_cmp_le_u32_e32 vcc, s24, v4
	v_cndmask_b32_e32 v3, v3, v8, vcc
	v_mov_b32_e32 v4, v7
.LBB0_6:                                ;   in Loop: Header=BB0_2 Depth=1
	s_or_b64 exec, exec, s[0:1]
	v_mul_lo_u32 v8, v4, s24
	v_mul_lo_u32 v13, v3, s25
	v_mad_u64_u32 v[11:12], s[0:1], v3, s24, 0
	s_load_dwordx2 s[0:1], s[6:7], 0x0
	s_load_dwordx2 s[24:25], s[2:3], 0x0
	v_add3_u32 v8, v12, v13, v8
	v_sub_co_u32_e32 v9, vcc, v9, v11
	v_subb_co_u32_e32 v8, vcc, v10, v8, vcc
	s_waitcnt lgkmcnt(0)
	v_mul_lo_u32 v10, s0, v8
	v_mul_lo_u32 v11, s1, v9
	v_mad_u64_u32 v[5:6], s[0:1], s0, v9, v[5:6]
	v_mul_lo_u32 v8, s24, v8
	v_mul_lo_u32 v12, s25, v9
	v_mad_u64_u32 v[1:2], s[0:1], s24, v9, v[1:2]
	s_add_u32 s22, s22, 1
	s_addc_u32 s23, s23, 0
	s_add_u32 s2, s2, 8
	v_add3_u32 v2, v12, v2, v8
	s_addc_u32 s3, s3, 0
	v_mov_b32_e32 v8, s10
	s_add_u32 s6, s6, 8
	v_mov_b32_e32 v9, s11
	s_addc_u32 s7, s7, 0
	v_cmp_ge_u64_e32 vcc, s[22:23], v[8:9]
	s_add_u32 s20, s20, 8
	v_add3_u32 v6, v11, v6, v10
	s_addc_u32 s21, s21, 0
	s_cbranch_vccnz .LBB0_9
; %bb.7:                                ;   in Loop: Header=BB0_2 Depth=1
	v_mov_b32_e32 v10, v4
	v_mov_b32_e32 v9, v3
	s_branch .LBB0_2
.LBB0_8:
	v_mov_b32_e32 v1, v5
	v_mov_b32_e32 v3, v9
	;; [unrolled: 1-line block ×4, first 2 shown]
.LBB0_9:
	s_load_dwordx2 s[0:1], s[4:5], 0x28
	s_lshl_b64 s[6:7], s[10:11], 3
	s_add_u32 s2, s18, s6
	s_addc_u32 s3, s19, s7
                                        ; implicit-def: $sgpr10
                                        ; implicit-def: $vgpr7
	s_waitcnt lgkmcnt(0)
	v_cmp_gt_u64_e32 vcc, s[0:1], v[3:4]
	v_cmp_le_u64_e64 s[0:1], s[0:1], v[3:4]
	s_and_saveexec_b64 s[4:5], s[0:1]
	s_xor_b64 s[0:1], exec, s[4:5]
; %bb.10:
	s_mov_b32 s4, 0x2828283
	v_mul_hi_u32 v5, v0, s4
	s_mov_b32 s10, 0
	v_mul_u32_u24_e32 v5, 0x66, v5
	v_sub_u32_e32 v7, v0, v5
                                        ; implicit-def: $vgpr0
                                        ; implicit-def: $vgpr5_vgpr6
; %bb.11:
	s_or_saveexec_b64 s[4:5], s[0:1]
	v_mov_b32_e32 v8, s10
                                        ; implicit-def: $vgpr33
                                        ; implicit-def: $vgpr9
                                        ; implicit-def: $vgpr28
                                        ; implicit-def: $vgpr10
                                        ; implicit-def: $vgpr27
                                        ; implicit-def: $vgpr11
                                        ; implicit-def: $vgpr25
                                        ; implicit-def: $vgpr12
                                        ; implicit-def: $vgpr24
                                        ; implicit-def: $vgpr13
                                        ; implicit-def: $vgpr23
                                        ; implicit-def: $vgpr14
                                        ; implicit-def: $vgpr21
                                        ; implicit-def: $vgpr16
                                        ; implicit-def: $vgpr20
                                        ; implicit-def: $vgpr17
                                        ; implicit-def: $vgpr40
                                        ; implicit-def: $vgpr31
                                        ; implicit-def: $vgpr35
                                        ; implicit-def: $vgpr34
                                        ; implicit-def: $vgpr36
                                        ; implicit-def: $vgpr30
                                        ; implicit-def: $vgpr37
                                        ; implicit-def: $vgpr26
                                        ; implicit-def: $vgpr38
                                        ; implicit-def: $vgpr22
                                        ; implicit-def: $vgpr39
                                        ; implicit-def: $vgpr15
                                        ; implicit-def: $vgpr32
                                        ; implicit-def: $vgpr19
                                        ; implicit-def: $vgpr29
                                        ; implicit-def: $vgpr18
	s_xor_b64 exec, exec, s[4:5]
	s_cbranch_execz .LBB0_13
; %bb.12:
	s_add_u32 s0, s16, s6
	s_addc_u32 s1, s17, s7
	s_load_dwordx2 s[0:1], s[0:1], 0x0
	s_mov_b32 s6, 0x2828283
	v_mul_hi_u32 v7, v0, s6
	v_lshlrev_b64 v[5:6], 2, v[5:6]
	s_waitcnt lgkmcnt(0)
	v_mul_lo_u32 v10, s1, v3
	v_mul_lo_u32 v11, s0, v4
	v_mad_u64_u32 v[8:9], s[0:1], s0, v3, 0
	v_mul_u32_u24_e32 v7, 0x66, v7
	v_sub_u32_e32 v7, v0, v7
	v_add3_u32 v9, v9, v11, v10
	v_lshlrev_b64 v[8:9], 2, v[8:9]
	v_mov_b32_e32 v0, s13
	v_add_co_u32_e64 v8, s[0:1], s12, v8
	v_addc_co_u32_e64 v0, s[0:1], v0, v9, s[0:1]
	v_add_co_u32_e64 v5, s[0:1], v8, v5
	v_addc_co_u32_e64 v0, s[0:1], v0, v6, s[0:1]
	v_lshlrev_b32_e32 v6, 2, v7
	v_add_co_u32_e64 v5, s[0:1], v5, v6
	v_addc_co_u32_e64 v6, s[0:1], 0, v0, s[0:1]
	s_movk_i32 s0, 0x1000
	global_load_dword v9, v[5:6], off offset:408
	global_load_dword v10, v[5:6], off offset:816
	;; [unrolled: 1-line block ×7, first 2 shown]
	v_add_co_u32_e64 v20, s[0:1], s0, v5
	v_addc_co_u32_e64 v21, s[0:1], 0, v6, s[0:1]
	global_load_dword v17, v[5:6], off offset:3264
	global_load_dword v18, v[5:6], off offset:3672
	;; [unrolled: 1-line block ×9, first 2 shown]
	global_load_dword v8, v[5:6], off
	s_waitcnt vmcnt(16)
	v_lshrrev_b32_e32 v33, 16, v9
	s_waitcnt vmcnt(15)
	v_lshrrev_b32_e32 v28, 16, v10
	;; [unrolled: 2-line block ×16, first 2 shown]
.LBB0_13:
	s_or_b64 exec, exec, s[4:5]
	s_waitcnt vmcnt(0)
	v_add_f16_e32 v0, v9, v8
	v_add_f16_sdwa v5, v33, v8 dst_sel:DWORD dst_unused:UNUSED_PAD src0_sel:DWORD src1_sel:WORD_1
	v_add_f16_e32 v0, v10, v0
	v_add_f16_e32 v5, v28, v5
	;; [unrolled: 1-line block ×31, first 2 shown]
	v_sub_f16_e32 v31, v9, v31
	v_add_f16_e32 v42, v10, v34
	v_add_f16_e32 v9, v28, v35
	v_sub_f16_e32 v34, v10, v34
	v_sub_f16_e32 v28, v28, v35
	v_add_f16_e32 v43, v11, v30
	v_add_f16_e32 v10, v27, v36
	v_sub_f16_e32 v35, v11, v30
	;; [unrolled: 4-line block ×4, first 2 shown]
	v_sub_f16_e32 v22, v24, v38
	v_add_f16_e32 v24, v14, v15
	v_sub_f16_e32 v38, v14, v15
	v_mad_u32_u24 v14, v7, 34, 0
	s_mov_b32 s11, 0x39e93b76
	v_add_f16_e32 v6, v33, v40
	v_sub_f16_e32 v33, v33, v40
	ds_write_b16 v14, v0
	v_pk_mul_f16 v0, v5, s11 op_sel_hi:[0,1]
	s_mov_b32 s19, 0xb964b5c8
	s_mov_b32 s10, 0x2de839e9
	v_add_f16_e32 v15, v21, v32
	v_sub_f16_e32 v21, v21, v32
	v_add_f16_e32 v32, v17, v18
	v_sub_f16_e32 v40, v17, v18
	v_pk_fma_f16 v17, v33, s19, v0 op_sel_hi:[0,1,1] neg_lo:[1,0,0] neg_hi:[1,0,0]
	v_pk_mul_f16 v45, v42, s10 op_sel_hi:[0,1]
	s_mov_b32 s18, 0xbbf7b964
	s_mov_b32 s7, 0xb8d23722
	v_pk_add_f16 v17, v17, v8 op_sel_hi:[1,0]
	v_pk_fma_f16 v18, v28, s18, v45 op_sel_hi:[0,1,1] neg_lo:[1,0,0] neg_hi:[1,0,0]
	v_pk_mul_f16 v46, v43, s7 op_sel_hi:[0,1]
	s_mov_b32 s16, 0xba62bb29
	s_mov_b32 s6, 0xbbdd2de8
	v_pk_add_f16 v17, v18, v17
	v_pk_fma_f16 v18, v27, s16, v46 op_sel_hi:[0,1,1] neg_lo:[1,0,0] neg_hi:[1,0,0]
	v_pk_mul_f16 v47, v30, s6 op_sel_hi:[0,1]
	s_mov_b32 s17, 0xb1e1bbf7
	s_mov_b32 s12, 0xbacdb461
	v_pk_add_f16 v17, v18, v17
	v_pk_fma_f16 v18, v25, s17, v47 op_sel_hi:[0,1,1] neg_lo:[1,0,0] neg_hi:[1,0,0]
	v_pk_mul_f16 v48, v26, s12 op_sel_hi:[0,1]
	s_mov_b32 s21, 0x3836bbb2
	s_mov_b32 s13, 0xb461b8d2
	v_add_f16_e32 v13, v23, v39
	v_sub_f16_e32 v23, v23, v39
	v_add_f16_e32 v44, v16, v19
	v_pk_add_f16 v17, v18, v17
	v_pk_fma_f16 v18, v22, s21, v48 op_sel_hi:[0,1,1] neg_lo:[1,0,0] neg_hi:[1,0,0]
	v_pk_mul_f16 v49, v24, s13 op_sel_hi:[0,1]
	s_mov_b32 s22, 0x3bb2ba62
	s_mov_b32 s20, 0x3722bacd
	v_pk_add_f16 v17, v18, v17
	v_pk_fma_f16 v18, v23, s22, v49 op_sel_hi:[0,1,1] neg_lo:[1,0,0] neg_hi:[1,0,0]
	v_pk_mul_f16 v50, v44, s20 op_sel_hi:[0,1]
	s_mov_b32 s23, 0x3b29b836
	s_mov_b32 s24, 0x3b76bbdd
	v_sub_f16_e32 v39, v16, v19
	v_add_f16_e32 v16, v20, v29
	v_sub_f16_e32 v29, v20, v29
	v_pk_add_f16 v17, v18, v17
	v_pk_fma_f16 v18, v21, s23, v50 op_sel_hi:[0,1,1] neg_lo:[1,0,0] neg_hi:[1,0,0]
	v_pk_mul_f16 v51, v32, s24 op_sel_hi:[0,1]
	s_mov_b32 s25, 0x35c8b1e1
	s_mov_b32 s26, 0x2de83722
	v_pk_add_f16 v17, v18, v17
	v_pk_fma_f16 v18, v29, s25, v51 op_sel_hi:[0,1,1] neg_lo:[1,0,0] neg_hi:[1,0,0]
	v_pk_mul_f16 v52, v5, s26 op_sel_hi:[0,1]
	s_mov_b32 s29, 0xbbf7bb29
	s_mov_b32 s27, 0xbbddb8d2
	v_pk_add_f16 v17, v18, v17
	v_pk_fma_f16 v18, v33, s29, v52 op_sel_hi:[0,1,1] neg_lo:[1,0,0] neg_hi:[1,0,0]
	v_pk_mul_f16 v53, v42, s27 op_sel_hi:[0,1]
	s_mov_b32 s31, 0xb1e1ba62
	s_mov_b32 s28, 0xb461bbdd
	v_pk_add_f16 v18, v18, v8 op_sel_hi:[1,0]
	v_pk_fma_f16 v19, v28, s31, v53 op_sel_hi:[0,1,1] neg_lo:[1,0,0] neg_hi:[1,0,0]
	v_pk_mul_f16 v54, v43, s28 op_sel_hi:[0,1]
	s_mov_b32 s34, 0x3bb231e1
	s_mov_b32 s30, 0x3b76b461
	v_pk_add_f16 v18, v19, v18
	v_pk_fma_f16 v19, v27, s34, v54 op_sel_hi:[0,1,1] neg_lo:[1,0,0] neg_hi:[1,0,0]
	v_pk_mul_f16 v55, v30, s30 op_sel_hi:[0,1]
	s_mov_b32 s36, 0x35c83bb2
	s_mov_b32 s33, 0x372239e9
	v_pk_add_f16 v18, v19, v18
	v_pk_fma_f16 v19, v25, s36, v55 op_sel_hi:[0,1,1] neg_lo:[1,0,0] neg_hi:[1,0,0]
	v_pk_mul_f16 v56, v26, s33 op_sel_hi:[0,1]
	s_mov_b32 s38, 0xbb293964
	s_mov_b32 s35, 0xbacd3b76
	v_pk_add_f16 v18, v19, v18
	v_pk_fma_f16 v19, v22, s38, v56 op_sel_hi:[0,1,1] neg_lo:[1,0,0] neg_hi:[1,0,0]
	v_pk_mul_f16 v57, v24, s35 op_sel_hi:[0,1]
	s_mov_b32 s39, 0xb836b5c8
	s_mov_b32 s37, 0xb8d22de8
	v_pk_add_f16 v18, v19, v18
	v_pk_fma_f16 v19, v23, s39, v57 op_sel_hi:[0,1,1] neg_lo:[1,0,0] neg_hi:[1,0,0]
	v_pk_mul_f16 v58, v44, s37 op_sel_hi:[0,1]
	s_mov_b32 s40, 0x3a62bbf7
	s_mov_b32 s41, 0x39e9bacd
	v_pk_add_f16 v18, v19, v18
	v_pk_fma_f16 v19, v21, s40, v58 op_sel_hi:[0,1,1] neg_lo:[1,0,0] neg_hi:[1,0,0]
	v_pk_mul_f16 v59, v32, s41 op_sel_hi:[0,1]
	s_mov_b32 s42, 0x3964b836
	s_mov_b32 s0, 0xb8d2b461
	v_pk_add_f16 v18, v19, v18
	v_pk_fma_f16 v19, v29, s42, v59 op_sel_hi:[0,1,1] neg_lo:[1,0,0] neg_hi:[1,0,0]
	v_pk_mul_f16 v60, v5, s0 op_sel_hi:[0,1]
	s_mov_b32 s55, 0xba62bbb2
	s_mov_b32 s1, 0xb461bacd
	v_pk_add_f16 v18, v19, v18
	v_pk_fma_f16 v19, v33, s55, v60 op_sel_hi:[0,1,1] neg_lo:[1,0,0] neg_hi:[1,0,0]
	v_pk_mul_f16 v61, v42, s1 op_sel_hi:[0,1]
	s_mov_b32 s56, 0x3bb23836
	s_mov_b32 s4, 0x3b7639e9
	v_pk_add_f16 v19, v19, v8 op_sel_hi:[1,0]
	v_pk_fma_f16 v20, v28, s56, v61 op_sel_hi:[0,1,1] neg_lo:[1,0,0] neg_hi:[1,0,0]
	v_pk_mul_f16 v62, v43, s4 op_sel_hi:[0,1]
	s_mov_b32 s57, 0xb5c83964
	s_mov_b32 s5, 0xbacd3722
	v_pk_add_f16 v19, v20, v19
	v_pk_fma_f16 v20, v27, s57, v62 op_sel_hi:[0,1,1] neg_lo:[1,0,0] neg_hi:[1,0,0]
	v_pk_mul_f16 v63, v30, s5 op_sel_hi:[0,1]
	s_mov_b32 s58, 0xb836bb29
	s_mov_b32 s43, 0x2de8bbdd
	v_pk_add_f16 v19, v20, v19
	v_pk_fma_f16 v20, v25, s58, v63 op_sel_hi:[0,1,1] neg_lo:[1,0,0] neg_hi:[1,0,0]
	v_pk_mul_f16 v64, v26, s43 op_sel_hi:[0,1]
	s_mov_b32 s59, 0x3bf7b1e1
	s_mov_b32 s44, 0x39e92de8
	v_pk_add_f16 v19, v20, v19
	v_pk_fma_f16 v20, v22, s59, v64 op_sel_hi:[0,1,1] neg_lo:[1,0,0] neg_hi:[1,0,0]
	v_pk_mul_f16 v65, v24, s44 op_sel_hi:[0,1]
	s_mov_b32 s60, 0xb9643bf7
	s_mov_b32 s45, 0xbbdd3b76
	v_pk_add_f16 v19, v20, v19
	v_pk_fma_f16 v20, v23, s60, v65 op_sel_hi:[0,1,1] neg_lo:[1,0,0] neg_hi:[1,0,0]
	v_pk_mul_f16 v66, v44, s45 op_sel_hi:[0,1]
	s_mov_b32 s61, 0xb1e1b5c8
	s_mov_b32 s46, 0x3722b8d2
	;; [unrolled: 40-line block ×3, first 2 shown]
	v_pk_add_f16 v20, v68, v20
	v_pk_fma_f16 v68, v21, s69, v44 op_sel_hi:[0,1,1] neg_lo:[1,0,0] neg_hi:[1,0,0]
	v_pk_mul_f16 v32, v32, s54 op_sel_hi:[0,1]
	s_mov_b32 s70, 0x3bf7bbb2
	v_pk_add_f16 v20, v68, v20
	v_pk_fma_f16 v68, v29, s70, v32 op_sel_hi:[0,1,1] neg_lo:[1,0,0] neg_hi:[1,0,0]
	v_pk_add_f16 v20, v68, v20
	v_pk_fma_f16 v5, v33, s63, v5 op_sel_hi:[0,1,1]
	ds_write_b128 v14, v[17:20] offset:2
	v_pk_add_f16 v5, v5, v8 op_sel_hi:[1,0]
	v_pk_fma_f16 v17, v28, s64, v42 op_sel_hi:[0,1,1]
	v_pk_add_f16 v5, v17, v5
	v_pk_fma_f16 v17, v27, s65, v43 op_sel_hi:[0,1,1]
	v_pk_add_f16 v5, v17, v5
	;; [unrolled: 2-line block ×7, first 2 shown]
	v_alignbit_b32 v17, v5, v5, 16
	v_pk_fma_f16 v5, v33, s55, v60 op_sel_hi:[0,1,1]
	v_pk_add_f16 v5, v5, v8 op_sel_hi:[1,0]
	v_pk_fma_f16 v18, v28, s56, v61 op_sel_hi:[0,1,1]
	v_pk_add_f16 v5, v18, v5
	v_pk_fma_f16 v18, v27, s57, v62 op_sel_hi:[0,1,1]
	v_pk_add_f16 v5, v18, v5
	;; [unrolled: 2-line block ×7, first 2 shown]
	v_alignbit_b32 v18, v5, v5, 16
	v_pk_fma_f16 v5, v33, s29, v52 op_sel_hi:[0,1,1]
	v_pk_add_f16 v5, v5, v8 op_sel_hi:[1,0]
	v_pk_fma_f16 v19, v28, s31, v53 op_sel_hi:[0,1,1]
	v_pk_add_f16 v5, v19, v5
	v_pk_fma_f16 v19, v27, s34, v54 op_sel_hi:[0,1,1]
	v_pk_add_f16 v5, v19, v5
	;; [unrolled: 2-line block ×7, first 2 shown]
	v_pk_fma_f16 v0, v33, s19, v0 op_sel_hi:[0,1,1]
	v_alignbit_b32 v19, v5, v5, 16
	v_pk_add_f16 v0, v0, v8 op_sel_hi:[1,0]
	v_pk_fma_f16 v5, v28, s18, v45 op_sel_hi:[0,1,1]
	v_pk_add_f16 v0, v5, v0
	v_pk_fma_f16 v5, v27, s16, v46 op_sel_hi:[0,1,1]
	v_pk_add_f16 v0, v5, v0
	;; [unrolled: 2-line block ×7, first 2 shown]
	v_alignbit_b32 v20, v0, v0, 16
	v_lshlrev_b32_e32 v0, 5, v7
	v_sub_u32_e32 v0, v14, v0
	v_pk_mul_f16 v45, v31, s19 op_sel_hi:[0,1]
	s_load_dwordx2 s[2:3], s[2:3], 0x0
	ds_write_b128 v14, v[17:20] offset:18
	s_waitcnt lgkmcnt(0)
	s_barrier
	ds_read_u16 v5, v0
	ds_read_u16 v29, v0 offset:204
	ds_read_u16 v27, v0 offset:408
	ds_read_u16 v23, v0 offset:612
	ds_read_u16 v21, v0 offset:816
	ds_read_u16 v19, v0 offset:1020
	ds_read_u16 v20, v0 offset:1224
	ds_read_u16 v32, v0 offset:1428
	ds_read_u16 v22, v0 offset:1632
	ds_read_u16 v17, v0 offset:1836
	ds_read_u16 v18, v0 offset:2040
	ds_read_u16 v24, v0 offset:2244
	ds_read_u16 v33, v0 offset:2448
	ds_read_u16 v30, v0 offset:2652
	ds_read_u16 v28, v0 offset:2856
	ds_read_u16 v26, v0 offset:3060
	ds_read_u16 v25, v0 offset:3264
	s_waitcnt lgkmcnt(0)
	s_barrier
	ds_write_b16 v14, v41
	v_pk_fma_f16 v41, v6, s11, v45 op_sel_hi:[0,1,1]
	v_pk_mul_f16 v46, v34, s18 op_sel_hi:[0,1]
	v_pk_add_f16 v41, v41, v8 op_sel:[0,1]
	v_pk_fma_f16 v42, v9, s10, v46 op_sel_hi:[0,1,1]
	v_pk_mul_f16 v47, v35, s16 op_sel_hi:[0,1]
	v_pk_add_f16 v41, v42, v41
	v_pk_fma_f16 v42, v10, s7, v47 op_sel_hi:[0,1,1]
	v_pk_mul_f16 v48, v36, s17 op_sel_hi:[0,1]
	v_pk_add_f16 v41, v42, v41
	v_pk_fma_f16 v42, v11, s6, v48 op_sel_hi:[0,1,1]
	v_pk_mul_f16 v49, v37, s21 op_sel_hi:[0,1]
	v_pk_add_f16 v41, v42, v41
	v_pk_fma_f16 v42, v12, s12, v49 op_sel_hi:[0,1,1]
	v_pk_mul_f16 v50, v38, s22 op_sel_hi:[0,1]
	v_pk_add_f16 v41, v42, v41
	v_pk_fma_f16 v42, v13, s13, v50 op_sel_hi:[0,1,1]
	v_pk_mul_f16 v51, v39, s23 op_sel_hi:[0,1]
	v_pk_add_f16 v41, v42, v41
	v_pk_fma_f16 v42, v15, s20, v51 op_sel_hi:[0,1,1]
	v_pk_mul_f16 v52, v40, s25 op_sel_hi:[0,1]
	v_pk_add_f16 v41, v42, v41
	v_pk_fma_f16 v42, v16, s24, v52 op_sel_hi:[0,1,1]
	v_pk_mul_f16 v53, v31, s29 op_sel_hi:[0,1]
	v_pk_add_f16 v41, v42, v41
	v_pk_fma_f16 v42, v6, s26, v53 op_sel_hi:[0,1,1]
	v_pk_mul_f16 v54, v34, s31 op_sel_hi:[0,1]
	v_pk_add_f16 v42, v42, v8 op_sel:[0,1]
	v_pk_fma_f16 v43, v9, s27, v54 op_sel_hi:[0,1,1]
	v_pk_mul_f16 v55, v35, s34 op_sel_hi:[0,1]
	v_pk_add_f16 v42, v43, v42
	v_pk_fma_f16 v43, v10, s28, v55 op_sel_hi:[0,1,1]
	v_pk_mul_f16 v56, v36, s36 op_sel_hi:[0,1]
	v_pk_add_f16 v42, v43, v42
	v_pk_fma_f16 v43, v11, s30, v56 op_sel_hi:[0,1,1]
	v_pk_mul_f16 v57, v37, s38 op_sel_hi:[0,1]
	v_pk_add_f16 v42, v43, v42
	v_pk_fma_f16 v43, v12, s33, v57 op_sel_hi:[0,1,1]
	v_pk_mul_f16 v58, v38, s39 op_sel_hi:[0,1]
	v_pk_add_f16 v42, v43, v42
	v_pk_fma_f16 v43, v13, s35, v58 op_sel_hi:[0,1,1]
	v_pk_mul_f16 v59, v39, s40 op_sel_hi:[0,1]
	v_pk_add_f16 v42, v43, v42
	v_pk_fma_f16 v43, v15, s37, v59 op_sel_hi:[0,1,1]
	v_pk_mul_f16 v60, v40, s42 op_sel_hi:[0,1]
	v_pk_add_f16 v42, v43, v42
	v_pk_fma_f16 v43, v16, s41, v60 op_sel_hi:[0,1,1]
	v_pk_mul_f16 v61, v31, s55 op_sel_hi:[0,1]
	v_pk_add_f16 v42, v43, v42
	;; [unrolled: 24-line block ×3, first 2 shown]
	v_pk_fma_f16 v44, v6, s47, v31 op_sel_hi:[0,1,1]
	v_pk_mul_f16 v34, v34, s64 op_sel_hi:[0,1]
	v_pk_fma_f16 v31, v6, s47, v31 op_sel_hi:[0,1,1] neg_lo:[0,0,1] neg_hi:[0,0,1]
	v_pk_fma_f16 v69, v9, s48, v34 op_sel_hi:[0,1,1]
	v_pk_mul_f16 v35, v35, s65 op_sel_hi:[0,1]
	v_pk_add_f16 v31, v31, v8 op_sel:[0,1]
	v_pk_fma_f16 v34, v9, s48, v34 op_sel_hi:[0,1,1] neg_lo:[0,0,1] neg_hi:[0,0,1]
	v_pk_mul_f16 v36, v36, s66 op_sel_hi:[0,1]
	v_pk_add_f16 v31, v34, v31
	v_pk_fma_f16 v34, v10, s49, v35 op_sel_hi:[0,1,1] neg_lo:[0,0,1] neg_hi:[0,0,1]
	v_pk_mul_f16 v37, v37, s67 op_sel_hi:[0,1]
	v_pk_add_f16 v31, v34, v31
	;; [unrolled: 3-line block ×5, first 2 shown]
	v_pk_fma_f16 v34, v15, s53, v39 op_sel_hi:[0,1,1] neg_lo:[0,0,1] neg_hi:[0,0,1]
	v_pk_add_f16 v31, v34, v31
	v_pk_fma_f16 v34, v16, s54, v40 op_sel_hi:[0,1,1] neg_lo:[0,0,1] neg_hi:[0,0,1]
	v_pk_add_f16 v31, v34, v31
	v_pk_add_f16 v44, v44, v8 op_sel:[0,1]
	v_alignbit_b32 v34, v31, v31, 16
	v_pk_fma_f16 v31, v6, s0, v61 op_sel_hi:[0,1,1] neg_lo:[0,0,1] neg_hi:[0,0,1]
	v_pk_add_f16 v44, v69, v44
	v_pk_fma_f16 v69, v10, s49, v35 op_sel_hi:[0,1,1]
	v_pk_add_f16 v31, v31, v8 op_sel:[0,1]
	v_pk_fma_f16 v35, v9, s1, v62 op_sel_hi:[0,1,1] neg_lo:[0,0,1] neg_hi:[0,0,1]
	v_pk_add_f16 v31, v35, v31
	v_pk_fma_f16 v35, v10, s4, v63 op_sel_hi:[0,1,1] neg_lo:[0,0,1] neg_hi:[0,0,1]
	v_pk_add_f16 v31, v35, v31
	;; [unrolled: 2-line block ×7, first 2 shown]
	v_alignbit_b32 v35, v31, v31, 16
	v_pk_fma_f16 v31, v6, s26, v53 op_sel_hi:[0,1,1] neg_lo:[0,0,1] neg_hi:[0,0,1]
	v_pk_fma_f16 v6, v6, s11, v45 op_sel_hi:[0,1,1] neg_lo:[0,0,1] neg_hi:[0,0,1]
	v_pk_add_f16 v31, v31, v8 op_sel:[0,1]
	v_pk_add_f16 v6, v6, v8 op_sel:[0,1]
	v_pk_fma_f16 v8, v9, s10, v46 op_sel_hi:[0,1,1] neg_lo:[0,0,1] neg_hi:[0,0,1]
	v_pk_add_f16 v44, v69, v44
	v_pk_fma_f16 v69, v11, s50, v36 op_sel_hi:[0,1,1]
	v_pk_fma_f16 v36, v9, s27, v54 op_sel_hi:[0,1,1] neg_lo:[0,0,1] neg_hi:[0,0,1]
	v_pk_add_f16 v6, v8, v6
	v_pk_fma_f16 v8, v10, s7, v47 op_sel_hi:[0,1,1] neg_lo:[0,0,1] neg_hi:[0,0,1]
	v_pk_add_f16 v31, v36, v31
	;; [unrolled: 2-line block ×13, first 2 shown]
	s_movk_i32 s0, 0xf1
	v_pk_add_f16 v44, v69, v44
	v_pk_fma_f16 v69, v12, s51, v37 op_sel_hi:[0,1,1]
	v_pk_add_f16 v31, v36, v31
	v_alignbit_b32 v37, v6, v6, 16
	v_mul_lo_u16_sdwa v6, v7, s0 dst_sel:DWORD dst_unused:UNUSED_PAD src0_sel:BYTE_0 src1_sel:DWORD
	v_pk_add_f16 v44, v69, v44
	v_pk_fma_f16 v69, v13, s52, v38 op_sel_hi:[0,1,1]
	v_alignbit_b32 v36, v31, v31, 16
	v_lshrrev_b16_e32 v31, 12, v6
	v_pk_add_f16 v44, v69, v44
	v_pk_fma_f16 v69, v15, s53, v39 op_sel_hi:[0,1,1]
	v_mul_lo_u16_e32 v6, 17, v31
	v_pk_add_f16 v44, v69, v44
	v_pk_fma_f16 v69, v16, s54, v40 op_sel_hi:[0,1,1]
	v_sub_u16_e32 v10, v7, v6
	v_mov_b32_e32 v6, 6
	v_pk_add_f16 v44, v69, v44
	v_lshlrev_b32_sdwa v6, v6, v10 dst_sel:DWORD dst_unused:UNUSED_PAD src0_sel:DWORD src1_sel:BYTE_0
	ds_write_b128 v14, v[41:44] offset:2
	ds_write_b128 v14, v[34:37] offset:18
	s_waitcnt lgkmcnt(0)
	s_barrier
	global_load_dwordx4 v[11:14], v6, s[8:9]
	global_load_dwordx4 v[40:43], v6, s[8:9] offset:16
	global_load_dwordx4 v[44:47], v6, s[8:9] offset:32
	;; [unrolled: 1-line block ×3, first 2 shown]
	ds_read_u16 v9, v0
	ds_read_u16 v6, v0 offset:204
	ds_read_u16 v8, v0 offset:408
	;; [unrolled: 1-line block ×16, first 2 shown]
	s_mov_b32 s43, 0xb461
	s_mov_b32 s49, 0xbacd
	;; [unrolled: 1-line block ×3, first 2 shown]
	s_movk_i32 s45, 0x3722
	s_mov_b32 s47, 0xbbdd
	s_movk_i32 s48, 0x3b76
	s_movk_i32 s50, 0x39e9
	;; [unrolled: 1-line block ×3, first 2 shown]
	v_mul_u32_u24_e32 v31, 0x242, v31
	s_waitcnt vmcnt(0) lgkmcnt(0)
	s_barrier
	s_movk_i32 s0, 0x55
	v_cmp_gt_u32_e64 s[0:1], s0, v7
	v_mul_f16_sdwa v34, v6, v11 dst_sel:DWORD dst_unused:UNUSED_PAD src0_sel:DWORD src1_sel:WORD_1
	v_fma_f16 v38, v29, v11, -v34
	v_mul_f16_sdwa v29, v29, v11 dst_sel:DWORD dst_unused:UNUSED_PAD src0_sel:DWORD src1_sel:WORD_1
	v_fma_f16 v39, v6, v11, v29
	v_mul_f16_sdwa v6, v8, v12 dst_sel:DWORD dst_unused:UNUSED_PAD src0_sel:DWORD src1_sel:WORD_1
	v_fma_f16 v36, v27, v12, -v6
	v_mul_f16_sdwa v6, v27, v12 dst_sel:DWORD dst_unused:UNUSED_PAD src0_sel:DWORD src1_sel:WORD_1
	v_fma_f16 v37, v8, v12, v6
	;; [unrolled: 4-line block ×16, first 2 shown]
	v_add_f16_e32 v6, v5, v38
	v_add_f16_e32 v6, v6, v36
	;; [unrolled: 1-line block ×15, first 2 shown]
	v_sub_f16_e32 v26, v39, v48
	v_add_f16_e32 v25, v6, v47
	v_add_f16_e32 v8, v38, v47
	v_mul_f16_e32 v6, 0xbbb2, v26
	v_sub_f16_e32 v54, v37, v45
	v_fma_f16 v28, v8, s43, -v6
	v_fma_f16 v6, v8, s43, v6
	v_add_f16_e32 v53, v36, v44
	v_mul_f16_e32 v55, 0x3836, v54
	v_add_f16_e32 v6, v5, v6
	v_mul_f16_e32 v41, 0xba62, v26
	v_fma_f16 v56, v53, s49, -v55
	v_fma_f16 v55, v53, s49, v55
	v_add_f16_e32 v28, v5, v28
	v_fma_f16 v46, v8, s44, -v41
	v_fma_f16 v41, v8, s44, v41
	v_add_f16_e32 v6, v55, v6
	v_mul_f16_e32 v55, 0x3bb2, v54
	v_add_f16_e32 v41, v5, v41
	v_mul_f16_e32 v49, 0xb836, v26
	v_add_f16_e32 v28, v56, v28
	v_fma_f16 v56, v53, s43, -v55
	v_fma_f16 v55, v53, s43, v55
	v_add_f16_e32 v46, v5, v46
	v_fma_f16 v50, v8, s49, -v49
	v_fma_f16 v49, v8, s49, v49
	v_add_f16_e32 v41, v55, v41
	v_mul_f16_e32 v55, 0x3b29, v54
	v_add_f16_e32 v49, v5, v49
	v_mul_f16_e32 v51, 0xb1e1, v26
	v_add_f16_e32 v46, v56, v46
	v_fma_f16 v56, v53, s45, -v55
	v_fma_f16 v55, v53, s45, v55
	v_add_f16_e32 v50, v5, v50
	v_fma_f16 v52, v8, s47, -v51
	v_add_f16_e32 v49, v55, v49
	v_mul_f16_e32 v55, 0x35c8, v54
	v_add_f16_e32 v52, v5, v52
	v_fma_f16 v51, v8, s47, v51
	v_add_f16_e32 v50, v56, v50
	v_fma_f16 v56, v53, s48, -v55
	v_add_f16_e32 v51, v5, v51
	v_add_f16_e32 v52, v56, v52
	v_fma_f16 v55, v53, s48, v55
	v_sub_f16_e32 v56, v35, v43
	v_add_f16_e32 v51, v55, v51
	v_add_f16_e32 v55, v34, v42
	v_mul_f16_e32 v57, 0x3964, v56
	v_fma_f16 v58, v55, s50, -v57
	v_fma_f16 v57, v55, s50, v57
	v_add_f16_e32 v6, v57, v6
	v_mul_f16_e32 v57, 0xb5c8, v56
	v_add_f16_e32 v28, v58, v28
	v_fma_f16 v58, v55, s48, -v57
	v_fma_f16 v57, v55, s48, v57
	v_add_f16_e32 v41, v57, v41
	v_mul_f16_e32 v57, 0xbbf7, v56
	v_add_f16_e32 v46, v58, v46
	v_fma_f16 v58, v55, s46, -v57
	v_fma_f16 v57, v55, s46, v57
	v_add_f16_e32 v49, v57, v49
	v_mul_f16_e32 v57, 0xb836, v56
	v_add_f16_e32 v50, v58, v50
	v_fma_f16 v58, v55, s49, -v57
	v_add_f16_e32 v52, v58, v52
	v_fma_f16 v57, v55, s49, v57
	v_sub_f16_e32 v58, v29, v30
	v_add_f16_e32 v51, v57, v51
	v_add_f16_e32 v57, v27, v40
	v_mul_f16_e32 v59, 0xbb29, v58
	v_fma_f16 v60, v57, s45, -v59
	v_fma_f16 v59, v57, s45, v59
	v_add_f16_e32 v6, v59, v6
	v_mul_f16_e32 v59, 0xb836, v58
	v_add_f16_e32 v28, v60, v28
	v_fma_f16 v60, v57, s49, -v59
	v_fma_f16 v59, v57, s49, v59
	v_add_f16_e32 v41, v59, v41
	v_mul_f16_e32 v59, 0x3a62, v58
	v_add_f16_e32 v46, v60, v46
	v_fma_f16 v60, v57, s44, -v59
	v_fma_f16 v59, v57, s44, v59
	v_add_f16_e32 v49, v59, v49
	v_mul_f16_e32 v59, 0x3964, v58
	v_add_f16_e32 v50, v60, v50
	v_fma_f16 v60, v57, s50, -v59
	;; [unrolled: 22-line block ×5, first 2 shown]
	v_fma_f16 v6, v63, s43, v6
	v_add_f16_e32 v51, v6, v51
	v_pk_mul_f16 v6, v26, s19 op_sel_hi:[0,1]
	v_pk_fma_f16 v68, v8, s11, v6 op_sel_hi:[0,1,1] neg_lo:[0,0,1] neg_hi:[0,0,1]
	v_pk_fma_f16 v6, v8, s11, v6 op_sel_hi:[0,1,1]
	v_pk_mul_f16 v70, v54, s18 op_sel_hi:[0,1]
	v_pk_add_f16 v6, v5, v6 op_sel_hi:[0,1]
	v_pk_fma_f16 v71, v53, s10, v70 op_sel_hi:[0,1,1] neg_lo:[0,0,1] neg_hi:[0,0,1]
	v_pk_fma_f16 v70, v53, s10, v70 op_sel_hi:[0,1,1]
	v_add_f16_e32 v69, v5, v68
	v_add_f16_sdwa v68, v5, v68 dst_sel:DWORD dst_unused:UNUSED_PAD src0_sel:DWORD src1_sel:WORD_1
	v_pk_add_f16 v6, v70, v6
	v_pk_mul_f16 v70, v56, s16 op_sel_hi:[0,1]
	v_add_f16_e32 v69, v71, v69
	v_add_f16_sdwa v68, v71, v68 dst_sel:DWORD dst_unused:UNUSED_PAD src0_sel:WORD_1 src1_sel:DWORD
	v_pk_fma_f16 v71, v55, s7, v70 op_sel_hi:[0,1,1] neg_lo:[0,0,1] neg_hi:[0,0,1]
	v_pk_fma_f16 v70, v55, s7, v70 op_sel_hi:[0,1,1]
	v_pk_add_f16 v6, v70, v6
	v_pk_mul_f16 v70, v58, s17 op_sel_hi:[0,1]
	v_add_f16_e32 v69, v71, v69
	v_add_f16_sdwa v68, v71, v68 dst_sel:DWORD dst_unused:UNUSED_PAD src0_sel:WORD_1 src1_sel:DWORD
	v_pk_fma_f16 v71, v57, s6, v70 op_sel_hi:[0,1,1] neg_lo:[0,0,1] neg_hi:[0,0,1]
	v_pk_fma_f16 v70, v57, s6, v70 op_sel_hi:[0,1,1]
	;; [unrolled: 6-line block ×4, first 2 shown]
	v_pk_add_f16 v6, v70, v6
	v_pk_mul_f16 v70, v64, s23 op_sel_hi:[0,1]
	v_sub_f16_e32 v67, v12, v14
	v_add_f16_e32 v69, v71, v69
	v_add_f16_sdwa v68, v71, v68 dst_sel:DWORD dst_unused:UNUSED_PAD src0_sel:WORD_1 src1_sel:DWORD
	v_pk_fma_f16 v71, v63, s20, v70 op_sel_hi:[0,1,1] neg_lo:[0,0,1] neg_hi:[0,0,1]
	v_pk_fma_f16 v70, v63, s20, v70 op_sel_hi:[0,1,1]
	v_add_f16_e32 v52, v66, v52
	v_add_f16_e32 v66, v11, v13
	v_pk_add_f16 v6, v70, v6
	v_pk_mul_f16 v70, v67, s25 op_sel_hi:[0,1]
	v_add_f16_e32 v69, v71, v69
	v_add_f16_sdwa v68, v71, v68 dst_sel:DWORD dst_unused:UNUSED_PAD src0_sel:WORD_1 src1_sel:DWORD
	v_pk_fma_f16 v71, v66, s24, v70 op_sel_hi:[0,1,1] neg_lo:[0,0,1] neg_hi:[0,0,1]
	v_pk_fma_f16 v70, v66, s24, v70 op_sel_hi:[0,1,1]
	v_pk_mul_f16 v26, v26, s29 op_sel_hi:[0,1]
	v_pk_add_f16 v6, v70, v6
	v_pk_fma_f16 v70, v8, s26, v26 op_sel_hi:[0,1,1] neg_lo:[0,0,1] neg_hi:[0,0,1]
	v_pk_fma_f16 v8, v8, s26, v26 op_sel_hi:[0,1,1]
	v_add_f16_e32 v69, v71, v69
	v_add_f16_sdwa v68, v71, v68 dst_sel:DWORD dst_unused:UNUSED_PAD src0_sel:WORD_1 src1_sel:DWORD
	v_add_f16_e32 v71, v5, v70
	v_add_f16_sdwa v70, v5, v70 dst_sel:DWORD dst_unused:UNUSED_PAD src0_sel:DWORD src1_sel:WORD_1
	v_pk_add_f16 v5, v5, v8 op_sel_hi:[0,1]
	v_pk_mul_f16 v8, v54, s31 op_sel_hi:[0,1]
	v_pk_fma_f16 v26, v53, s27, v8 op_sel_hi:[0,1,1] neg_lo:[0,0,1] neg_hi:[0,0,1]
	v_pk_fma_f16 v8, v53, s27, v8 op_sel_hi:[0,1,1]
	v_pk_add_f16 v5, v8, v5
	v_pk_mul_f16 v8, v56, s34 op_sel_hi:[0,1]
	v_pk_fma_f16 v53, v55, s28, v8 op_sel_hi:[0,1,1] neg_lo:[0,0,1] neg_hi:[0,0,1]
	v_pk_fma_f16 v8, v55, s28, v8 op_sel_hi:[0,1,1]
	v_add_f16_e32 v54, v26, v71
	v_add_f16_sdwa v26, v26, v70 dst_sel:DWORD dst_unused:UNUSED_PAD src0_sel:WORD_1 src1_sel:DWORD
	v_pk_add_f16 v5, v8, v5
	v_pk_mul_f16 v8, v58, s36 op_sel_hi:[0,1]
	v_add_f16_e32 v54, v53, v54
	v_add_f16_sdwa v26, v53, v26 dst_sel:DWORD dst_unused:UNUSED_PAD src0_sel:WORD_1 src1_sel:DWORD
	v_pk_fma_f16 v53, v57, s30, v8 op_sel_hi:[0,1,1] neg_lo:[0,0,1] neg_hi:[0,0,1]
	v_pk_fma_f16 v8, v57, s30, v8 op_sel_hi:[0,1,1]
	v_pk_add_f16 v5, v8, v5
	v_pk_mul_f16 v8, v60, s38 op_sel_hi:[0,1]
	v_add_f16_e32 v54, v53, v54
	v_add_f16_sdwa v26, v53, v26 dst_sel:DWORD dst_unused:UNUSED_PAD src0_sel:WORD_1 src1_sel:DWORD
	v_pk_fma_f16 v53, v59, s33, v8 op_sel_hi:[0,1,1] neg_lo:[0,0,1] neg_hi:[0,0,1]
	v_pk_fma_f16 v8, v59, s33, v8 op_sel_hi:[0,1,1]
	;; [unrolled: 6-line block ×5, first 2 shown]
	v_pk_add_f16 v8, v8, v5
	v_mul_f16_e32 v5, 0xba62, v67
	v_add_f16_e32 v54, v53, v54
	v_add_f16_sdwa v26, v53, v26 dst_sel:DWORD dst_unused:UNUSED_PAD src0_sel:WORD_1 src1_sel:DWORD
	v_fma_f16 v53, v66, s44, -v5
	v_add_f16_e32 v28, v53, v28
	v_mul_f16_e32 v53, 0x3b29, v67
	v_fma_f16 v55, v66, s45, -v53
	v_fma_f16 v53, v66, s45, v53
	v_add_f16_e32 v41, v53, v41
	v_mul_f16_e32 v53, 0xbbb2, v67
	v_add_f16_e32 v46, v55, v46
	v_fma_f16 v55, v66, s43, -v53
	v_fma_f16 v53, v66, s43, v53
	v_add_f16_e32 v49, v53, v49
	v_mul_f16_e32 v53, 0x3bf7, v67
	v_add_f16_e32 v50, v55, v50
	v_fma_f16 v55, v66, s46, -v53
	v_fma_f16 v53, v66, s46, v53
	v_add_f16_e32 v51, v53, v51
	v_mov_b32_e32 v53, 1
	v_lshlrev_b32_sdwa v10, v53, v10 dst_sel:DWORD dst_unused:UNUSED_PAD src0_sel:DWORD src1_sel:BYTE_0
	v_fma_f16 v5, v66, s44, v5
	v_add_f16_e32 v52, v55, v52
	v_add3_u32 v55, 0, v31, v10
	v_add_f16_e32 v5, v5, v65
	ds_write_b16 v55, v25
	ds_write_b16 v55, v69 offset:34
	ds_write_b16 v55, v68 offset:68
	;; [unrolled: 1-line block ×12, first 2 shown]
	ds_write_b16_d16_hi v55, v8 offset:442
	ds_write_b16 v55, v8 offset:476
	ds_write_b16_d16_hi v55, v6 offset:510
	ds_write_b16 v55, v6 offset:544
	s_waitcnt lgkmcnt(0)
	s_barrier
	ds_read_u16 v25, v0
	ds_read_u16 v31, v0 offset:2312
	ds_read_u16 v49, v0 offset:1938
	;; [unrolled: 1-line block ×11, first 2 shown]
                                        ; implicit-def: $vgpr10
	s_and_saveexec_b64 s[4:5], s[0:1]
	s_cbranch_execz .LBB0_15
; %bb.14:
	ds_read_u16 v6, v0 offset:2142
	ds_read_u16 v8, v0 offset:2720
	;; [unrolled: 1-line block ×6, first 2 shown]
	s_mov_b32 s51, 0x5040100
	s_waitcnt lgkmcnt(4)
	v_perm_b32 v6, v6, v8, s51
	s_waitcnt lgkmcnt(1)
	v_perm_b32 v8, v56, v57, s51
.LBB0_15:
	s_or_b64 exec, exec, s[4:5]
	v_add_f16_e32 v56, v9, v39
	v_add_f16_e32 v56, v56, v37
	;; [unrolled: 1-line block ×14, first 2 shown]
	v_sub_f16_e32 v38, v38, v47
	v_add_f16_e32 v56, v56, v45
	v_add_f16_e32 v39, v39, v48
	v_mul_f16_e32 v47, 0xbbb2, v38
	v_sub_f16_e32 v36, v36, v44
	v_add_f16_e32 v56, v56, v48
	v_fma_f16 v48, v39, s43, v47
	v_fma_f16 v47, v39, s43, -v47
	v_add_f16_e32 v37, v37, v45
	v_mul_f16_e32 v44, 0x3836, v36
	v_sub_f16_e32 v34, v34, v42
	v_add_f16_e32 v47, v9, v47
	v_mul_f16_e32 v57, 0xba62, v38
	v_fma_f16 v45, v37, s49, v44
	v_fma_f16 v44, v37, s49, -v44
	v_add_f16_e32 v35, v35, v43
	v_mul_f16_e32 v42, 0x3964, v34
	v_sub_f16_e32 v27, v27, v40
	v_add_f16_e32 v48, v9, v48
	v_fma_f16 v58, v39, s44, v57
	v_fma_f16 v57, v39, s44, -v57
	v_add_f16_e32 v44, v44, v47
	v_mul_f16_e32 v47, 0x3bb2, v36
	v_fma_f16 v43, v35, s50, v42
	v_fma_f16 v42, v35, s50, -v42
	v_add_f16_e32 v29, v29, v30
	v_mul_f16_e32 v30, 0xbb29, v27
	v_sub_f16_e32 v21, v21, v32
	v_add_f16_e32 v57, v9, v57
	v_mul_f16_e32 v59, 0xb836, v38
	v_add_f16_e32 v45, v45, v48
	v_fma_f16 v48, v37, s43, v47
	v_fma_f16 v47, v37, s43, -v47
	v_add_f16_e32 v42, v42, v44
	v_mul_f16_e32 v44, 0xb5c8, v34
	v_fma_f16 v40, v29, s45, v30
	v_fma_f16 v30, v29, s45, -v30
	v_add_f16_e32 v23, v23, v33
	v_mul_f16_e32 v32, 0xb1e1, v21
	v_sub_f16_e32 v19, v19, v22
	v_add_f16_e32 v58, v9, v58
	v_fma_f16 v60, v39, s49, v59
	v_fma_f16 v59, v39, s49, -v59
	v_add_f16_e32 v47, v47, v57
	v_mul_f16_e32 v57, 0x3b29, v36
	v_add_f16_e32 v43, v43, v45
	v_fma_f16 v45, v35, s48, v44
	v_fma_f16 v44, v35, s48, -v44
	v_add_f16_e32 v30, v30, v42
	v_mul_f16_e32 v42, 0xb836, v27
	v_fma_f16 v33, v23, s47, v32
	v_fma_f16 v32, v23, s47, -v32
	v_add_f16_e32 v20, v20, v24
	v_mul_f16_e32 v22, 0x3bf7, v19
	v_sub_f16_e32 v15, v15, v17
	v_add_f16_e32 v59, v9, v59
	v_mul_f16_e32 v61, 0xb1e1, v38
	v_add_f16_e32 v48, v48, v58
	v_fma_f16 v58, v37, s45, v57
	v_fma_f16 v57, v37, s45, -v57
	v_add_f16_e32 v44, v44, v47
	v_mul_f16_e32 v47, 0xbbf7, v34
	v_add_f16_e32 v40, v40, v43
	v_fma_f16 v43, v29, s49, v42
	v_fma_f16 v42, v29, s49, -v42
	v_add_f16_e32 v30, v32, v30
	v_mul_f16_e32 v32, 0x3bf7, v21
	v_fma_f16 v24, v20, s46, v22
	v_fma_f16 v22, v20, s46, -v22
	v_add_f16_e32 v16, v16, v18
	v_mul_f16_e32 v17, 0xb5c8, v15
	v_add_f16_e32 v60, v9, v60
	v_fma_f16 v62, v39, s47, v61
	v_add_f16_e32 v57, v57, v59
	v_mul_f16_e32 v59, 0x35c8, v36
	v_add_f16_e32 v45, v45, v48
	v_fma_f16 v48, v35, s46, v47
	v_fma_f16 v47, v35, s46, -v47
	v_add_f16_e32 v42, v42, v44
	v_mul_f16_e32 v44, 0x3a62, v27
	v_add_f16_e32 v33, v33, v40
	v_fma_f16 v40, v23, s46, v32
	v_fma_f16 v32, v23, s46, -v32
	v_add_f16_e32 v22, v22, v30
	v_mul_f16_e32 v30, 0xb964, v19
	v_fma_f16 v18, v16, s48, v17
	v_fma_f16 v17, v16, s48, -v17
	v_add_f16_e32 v62, v9, v62
	v_add_f16_e32 v58, v58, v60
	v_fma_f16 v60, v37, s48, v59
	v_add_f16_e32 v47, v47, v57
	v_mul_f16_e32 v57, 0xb836, v34
	v_add_f16_e32 v43, v43, v45
	v_fma_f16 v45, v29, s44, v44
	v_fma_f16 v44, v29, s44, -v44
	v_add_f16_e32 v32, v32, v42
	v_mul_f16_e32 v42, 0xb5c8, v21
	v_add_f16_e32 v24, v24, v33
	v_fma_f16 v33, v20, s50, v30
	v_fma_f16 v30, v20, s50, -v30
	v_add_f16_e32 v17, v17, v22
	v_mul_f16_e32 v22, 0xb1e1, v15
	v_fma_f16 v61, v39, s47, -v61
	v_add_f16_e32 v60, v60, v62
	v_add_f16_e32 v48, v48, v58
	v_fma_f16 v58, v35, s49, v57
	v_add_f16_e32 v44, v44, v47
	v_mul_f16_e32 v47, 0x3964, v27
	v_add_f16_e32 v40, v40, v43
	v_fma_f16 v43, v23, s48, v42
	v_fma_f16 v42, v23, s48, -v42
	v_add_f16_e32 v30, v30, v32
	v_mul_f16_e32 v32, 0xb1e1, v19
	v_add_f16_e32 v18, v18, v24
	v_fma_f16 v24, v16, s47, v22
	v_fma_f16 v22, v16, s47, -v22
	v_add_f16_e32 v61, v9, v61
	v_fma_f16 v59, v37, s48, -v59
	v_add_f16_e32 v58, v58, v60
	v_add_f16_e32 v45, v45, v48
	v_fma_f16 v48, v29, s50, v47
	v_add_f16_e32 v42, v42, v44
	v_mul_f16_e32 v44, 0xba62, v21
	v_add_f16_e32 v33, v33, v40
	v_fma_f16 v40, v20, s47, v32
	v_fma_f16 v32, v20, s47, -v32
	v_add_f16_e32 v22, v22, v30
	v_mul_f16_e32 v30, 0x3964, v15
	v_add_f16_e32 v59, v59, v61
	v_fma_f16 v57, v35, s49, -v57
	v_add_f16_e32 v48, v48, v58
	v_add_f16_e32 v43, v43, v45
	v_fma_f16 v45, v23, s44, v44
	v_add_f16_e32 v32, v32, v42
	v_mul_f16_e32 v42, 0x3b29, v19
	v_add_f16_e32 v24, v24, v33
	v_fma_f16 v33, v16, s50, v30
	v_fma_f16 v30, v16, s50, -v30
	v_add_f16_e32 v57, v57, v59
	v_fma_f16 v47, v29, s50, -v47
	v_add_f16_e32 v45, v45, v48
	v_add_f16_e32 v40, v40, v43
	v_fma_f16 v43, v20, s45, v42
	v_add_f16_e32 v30, v30, v32
	v_mul_f16_e32 v32, 0xbbb2, v15
	v_add_f16_e32 v47, v47, v57
	v_fma_f16 v44, v23, s44, -v44
	v_add_f16_e32 v43, v43, v45
	v_add_f16_e32 v33, v33, v40
	v_fma_f16 v40, v16, s43, v32
	v_sub_f16_e32 v13, v11, v13
	v_pk_mul_f16 v11, v38, s19 op_sel_hi:[0,1]
	v_add_f16_e32 v44, v44, v47
	v_fma_f16 v42, v20, s45, -v42
	v_add_f16_e32 v40, v40, v43
	v_add_f16_e32 v14, v12, v14
	v_pk_fma_f16 v12, v39, s11, v11 op_sel_hi:[0,1,1]
	v_pk_fma_f16 v11, v39, s11, v11 op_sel_hi:[0,1,1] neg_lo:[0,0,1] neg_hi:[0,0,1]
	v_pk_mul_f16 v43, v36, s18 op_sel_hi:[0,1]
	v_add_f16_e32 v42, v42, v44
	v_fma_f16 v32, v16, s43, -v32
	v_pk_add_f16 v11, v9, v11 op_sel_hi:[0,1]
	v_pk_fma_f16 v44, v37, s10, v43 op_sel_hi:[0,1,1]
	v_pk_fma_f16 v43, v37, s10, v43 op_sel_hi:[0,1,1] neg_lo:[0,0,1] neg_hi:[0,0,1]
	v_add_f16_e32 v32, v32, v42
	v_add_f16_e32 v42, v9, v12
	v_add_f16_sdwa v12, v9, v12 dst_sel:DWORD dst_unused:UNUSED_PAD src0_sel:DWORD src1_sel:WORD_1
	v_pk_add_f16 v11, v43, v11
	v_pk_mul_f16 v43, v34, s16 op_sel_hi:[0,1]
	v_add_f16_e32 v42, v44, v42
	v_add_f16_sdwa v12, v44, v12 dst_sel:DWORD dst_unused:UNUSED_PAD src0_sel:WORD_1 src1_sel:DWORD
	v_pk_fma_f16 v44, v35, s7, v43 op_sel_hi:[0,1,1]
	v_pk_fma_f16 v43, v35, s7, v43 op_sel_hi:[0,1,1] neg_lo:[0,0,1] neg_hi:[0,0,1]
	v_pk_add_f16 v11, v43, v11
	v_pk_mul_f16 v43, v27, s17 op_sel_hi:[0,1]
	v_add_f16_e32 v42, v44, v42
	v_add_f16_sdwa v12, v44, v12 dst_sel:DWORD dst_unused:UNUSED_PAD src0_sel:WORD_1 src1_sel:DWORD
	v_pk_fma_f16 v44, v29, s6, v43 op_sel_hi:[0,1,1]
	v_pk_fma_f16 v43, v29, s6, v43 op_sel_hi:[0,1,1] neg_lo:[0,0,1] neg_hi:[0,0,1]
	;; [unrolled: 6-line block ×5, first 2 shown]
	v_pk_add_f16 v11, v43, v11
	v_pk_mul_f16 v43, v13, s25 op_sel_hi:[0,1]
	v_add_f16_e32 v42, v44, v42
	v_add_f16_sdwa v12, v44, v12 dst_sel:DWORD dst_unused:UNUSED_PAD src0_sel:WORD_1 src1_sel:DWORD
	v_pk_fma_f16 v44, v14, s24, v43 op_sel_hi:[0,1,1]
	v_add_f16_e32 v42, v44, v42
	v_add_f16_sdwa v44, v44, v12 dst_sel:DWORD dst_unused:UNUSED_PAD src0_sel:WORD_1 src1_sel:DWORD
	v_pk_mul_f16 v12, v38, s29 op_sel_hi:[0,1]
	v_pk_fma_f16 v43, v14, s24, v43 op_sel_hi:[0,1,1] neg_lo:[0,0,1] neg_hi:[0,0,1]
	v_pk_fma_f16 v38, v39, s26, v12 op_sel_hi:[0,1,1]
	v_pk_fma_f16 v12, v39, s26, v12 op_sel_hi:[0,1,1] neg_lo:[0,0,1] neg_hi:[0,0,1]
	v_pk_add_f16 v11, v43, v11
	v_add_f16_e32 v43, v9, v38
	v_add_f16_sdwa v38, v9, v38 dst_sel:DWORD dst_unused:UNUSED_PAD src0_sel:DWORD src1_sel:WORD_1
	v_pk_add_f16 v9, v9, v12 op_sel_hi:[0,1]
	v_pk_mul_f16 v12, v36, s31 op_sel_hi:[0,1]
	v_pk_fma_f16 v36, v37, s27, v12 op_sel_hi:[0,1,1]
	v_pk_fma_f16 v12, v37, s27, v12 op_sel_hi:[0,1,1] neg_lo:[0,0,1] neg_hi:[0,0,1]
	v_pk_add_f16 v9, v12, v9
	v_pk_mul_f16 v12, v34, s34 op_sel_hi:[0,1]
	v_pk_fma_f16 v34, v35, s28, v12 op_sel_hi:[0,1,1]
	v_pk_fma_f16 v12, v35, s28, v12 op_sel_hi:[0,1,1] neg_lo:[0,0,1] neg_hi:[0,0,1]
	v_pk_add_f16 v9, v12, v9
	;; [unrolled: 4-line block ×4, first 2 shown]
	v_pk_mul_f16 v12, v19, s39 op_sel_hi:[0,1]
	v_add_f16_e32 v39, v36, v43
	v_add_f16_sdwa v36, v36, v38 dst_sel:DWORD dst_unused:UNUSED_PAD src0_sel:WORD_1 src1_sel:DWORD
	v_pk_fma_f16 v19, v20, s35, v12 op_sel_hi:[0,1,1]
	v_pk_fma_f16 v12, v20, s35, v12 op_sel_hi:[0,1,1] neg_lo:[0,0,1] neg_hi:[0,0,1]
	v_add_f16_e32 v37, v34, v39
	v_add_f16_sdwa v34, v34, v36 dst_sel:DWORD dst_unused:UNUSED_PAD src0_sel:WORD_1 src1_sel:DWORD
	v_pk_add_f16 v9, v12, v9
	v_pk_mul_f16 v12, v15, s40 op_sel_hi:[0,1]
	v_add_f16_e32 v35, v27, v37
	v_add_f16_sdwa v27, v27, v34 dst_sel:DWORD dst_unused:UNUSED_PAD src0_sel:WORD_1 src1_sel:DWORD
	v_pk_fma_f16 v15, v16, s37, v12 op_sel_hi:[0,1,1]
	v_pk_fma_f16 v12, v16, s37, v12 op_sel_hi:[0,1,1] neg_lo:[0,0,1] neg_hi:[0,0,1]
	v_add_f16_e32 v29, v21, v35
	v_add_f16_sdwa v21, v21, v27 dst_sel:DWORD dst_unused:UNUSED_PAD src0_sel:WORD_1 src1_sel:DWORD
	v_pk_add_f16 v9, v12, v9
	;; [unrolled: 8-line block ×3, first 2 shown]
	v_mul_f16_e32 v9, 0xba62, v13
	v_add_f16_e32 v19, v16, v20
	v_add_f16_sdwa v15, v16, v15 dst_sel:DWORD dst_unused:UNUSED_PAD src0_sel:WORD_1 src1_sel:DWORD
	v_fma_f16 v16, v14, s44, v9
	v_fma_f16 v9, v14, s44, -v9
	v_add_f16_e32 v9, v9, v17
	v_mul_f16_e32 v17, 0x3b29, v13
	v_add_f16_e32 v16, v16, v18
	v_fma_f16 v18, v14, s45, v17
	v_fma_f16 v17, v14, s45, -v17
	v_mul_f16_e32 v20, 0xbbb2, v13
	v_mul_f16_e32 v13, 0x3bf7, v13
	v_add_f16_e32 v17, v17, v22
	v_fma_f16 v22, v14, s46, v13
	v_fma_f16 v13, v14, s46, -v13
	v_fma_f16 v21, v14, s43, v20
	v_fma_f16 v20, v14, s43, -v20
	v_add_f16_e32 v13, v13, v32
	v_add_f16_e32 v18, v18, v24
	;; [unrolled: 1-line block ×5, first 2 shown]
	s_waitcnt lgkmcnt(0)
	s_barrier
	ds_write_b16 v55, v56
	ds_write_b16 v55, v42 offset:34
	ds_write_b16 v55, v44 offset:68
	;; [unrolled: 1-line block ×12, first 2 shown]
	v_lshrrev_b32_e32 v13, 16, v12
	v_lshrrev_b32_e32 v14, 16, v11
	ds_write_b16 v55, v13 offset:442
	ds_write_b16 v55, v12 offset:476
	;; [unrolled: 1-line block ×4, first 2 shown]
	s_waitcnt lgkmcnt(0)
	s_barrier
	ds_read_u16 v16, v0
	ds_read_u16 v20, v0 offset:2312
	ds_read_u16 v22, v0 offset:1938
	;; [unrolled: 1-line block ×11, first 2 shown]
                                        ; implicit-def: $vgpr15
	s_and_saveexec_b64 s[4:5], s[0:1]
	s_cbranch_execz .LBB0_17
; %bb.16:
	ds_read_u16 v9, v0 offset:408
	ds_read_u16 v13, v0 offset:986
	;; [unrolled: 1-line block ×6, first 2 shown]
.LBB0_17:
	s_or_b64 exec, exec, s[4:5]
	s_and_saveexec_b64 s[4:5], vcc
	s_cbranch_execz .LBB0_20
; %bb.18:
	v_add_u32_e32 v0, 0x66, v7
	v_mul_u32_u24_e32 v32, 5, v7
	v_mul_u32_u24_e32 v0, 5, v0
	v_lshlrev_b32_e32 v40, 2, v32
	v_lshlrev_b32_e32 v0, 2, v0
	global_load_dwordx4 v[32:35], v40, s[8:9] offset:1088
	global_load_dwordx4 v[36:39], v0, s[8:9] offset:1088
	global_load_dword v42, v0, s[8:9] offset:1104
	v_mul_lo_u32 v0, s3, v3
	global_load_dword v40, v40, s[8:9] offset:1104
	v_mul_lo_u32 v43, s2, v4
	v_mad_u64_u32 v[3:4], s[2:3], s2, v3, 0
	s_movk_i32 s3, 0x3aee
	s_mov_b32 s2, 0xbaee
	v_add3_u32 v4, v4, v43, v0
	s_mov_b32 s4, 0xe2c4a689
	v_lshlrev_b64 v[3:4], 2, v[3:4]
	s_movk_i32 s6, 0x1000
	v_add_co_u32_e32 v3, vcc, s14, v3
	s_movk_i32 s5, 0x121
	s_waitcnt vmcnt(3) lgkmcnt(6)
	v_mul_f16_sdwa v0, v29, v33 dst_sel:DWORD dst_unused:UNUSED_PAD src0_sel:DWORD src1_sel:WORD_1
	v_mul_f16_sdwa v44, v53, v33 dst_sel:DWORD dst_unused:UNUSED_PAD src0_sel:DWORD src1_sel:WORD_1
	s_waitcnt vmcnt(2)
	v_mul_f16_sdwa v45, v24, v37 dst_sel:DWORD dst_unused:UNUSED_PAD src0_sel:DWORD src1_sel:WORD_1
	s_waitcnt lgkmcnt(0)
	v_mul_f16_sdwa v47, v30, v39 dst_sel:DWORD dst_unused:UNUSED_PAD src0_sel:DWORD src1_sel:WORD_1
	v_mul_f16_sdwa v55, v54, v39 dst_sel:DWORD dst_unused:UNUSED_PAD src0_sel:DWORD src1_sel:WORD_1
	;; [unrolled: 1-line block ×3, first 2 shown]
	s_waitcnt vmcnt(1)
	v_mul_f16_sdwa v58, v27, v42 dst_sel:DWORD dst_unused:UNUSED_PAD src0_sel:DWORD src1_sel:WORD_1
	v_mul_f16_sdwa v48, v51, v37 dst_sel:DWORD dst_unused:UNUSED_PAD src0_sel:DWORD src1_sel:WORD_1
	;; [unrolled: 1-line block ×6, first 2 shown]
	v_fma_f16 v0, v53, v33, -v0
	v_fma_f16 v29, v29, v33, v44
	v_fma_f16 v33, v51, v37, -v45
	v_fma_f16 v44, v54, v39, -v47
	v_fma_f16 v30, v30, v39, v55
	v_fma_f16 v39, v49, v38, -v57
	;; [unrolled: 3-line block ×3, first 2 shown]
	v_fma_f16 v22, v22, v38, v59
	v_fma_f16 v27, v27, v42, v60
	;; [unrolled: 1-line block ×3, first 2 shown]
	v_add_f16_e32 v47, v39, v45
	v_sub_f16_e32 v38, v33, v44
	v_add_f16_e32 v42, v24, v30
	v_sub_f16_e32 v48, v22, v27
	v_sub_f16_e32 v49, v39, v45
	v_add_f16_e32 v50, v22, v27
	v_add_f16_e32 v51, v21, v24
	;; [unrolled: 1-line block ×6, first 2 shown]
	v_fma_f16 v37, v47, -0.5, v37
	v_sub_f16_e32 v24, v24, v30
	v_fma_f16 v21, v42, -0.5, v21
	v_fma_f16 v23, v50, -0.5, v23
	v_add_f16_e32 v30, v51, v30
	v_add_f16_e32 v22, v22, v27
	v_fma_f16 v27, v52, -0.5, v46
	v_add_f16_e32 v33, v33, v44
	v_add_f16_e32 v39, v39, v45
	v_fma_f16 v44, v48, s2, v37
	v_fma_f16 v37, v48, s3, v37
	;; [unrolled: 1-line block ×6, first 2 shown]
	v_sub_f16_e32 v38, v30, v22
	v_fma_f16 v46, v24, s2, v27
	v_fma_f16 v24, v24, s3, v27
	v_sub_f16_e32 v27, v33, v39
	v_add_f16_e32 v22, v30, v22
	v_add_f16_e32 v30, v33, v39
	v_mul_f16_e32 v39, 0xbaee, v37
	v_mul_f16_e32 v47, -0.5, v44
	v_mul_f16_e32 v48, 0x3aee, v23
	v_fma_f16 v23, v23, 0.5, v39
	v_fma_f16 v39, v45, s3, v47
	v_mul_f16_e32 v33, -0.5, v45
	v_sub_f16_e32 v45, v21, v23
	v_sub_f16_e32 v47, v46, v39
	v_add_f16_e32 v21, v21, v23
	v_add_f16_e32 v23, v46, v39
	v_mul_f16_sdwa v39, v18, v34 dst_sel:DWORD dst_unused:UNUSED_PAD src0_sel:DWORD src1_sel:WORD_1
	v_mul_f16_sdwa v43, v20, v35 dst_sel:DWORD dst_unused:UNUSED_PAD src0_sel:DWORD src1_sel:WORD_1
	v_fma_f16 v37, v37, 0.5, v48
	v_fma_f16 v39, v28, v34, -v39
	v_mul_f16_sdwa v28, v28, v34 dst_sel:DWORD dst_unused:UNUSED_PAD src0_sel:DWORD src1_sel:WORD_1
	v_fma_f16 v43, v31, v35, -v43
	v_fma_f16 v33, v44, s2, v33
	v_sub_f16_e32 v48, v24, v37
	v_add_f16_e32 v24, v24, v37
	v_mul_f16_sdwa v31, v31, v35 dst_sel:DWORD dst_unused:UNUSED_PAD src0_sel:DWORD src1_sel:WORD_1
	v_mul_f16_sdwa v37, v17, v32 dst_sel:DWORD dst_unused:UNUSED_PAD src0_sel:DWORD src1_sel:WORD_1
	v_fma_f16 v18, v18, v34, v28
	s_waitcnt vmcnt(0)
	v_mul_f16_sdwa v28, v41, v40 dst_sel:DWORD dst_unused:UNUSED_PAD src0_sel:DWORD src1_sel:WORD_1
	v_sub_f16_e32 v44, v42, v33
	v_add_f16_e32 v33, v42, v33
	v_fma_f16 v20, v20, v35, v31
	v_fma_f16 v37, v26, v32, -v37
	v_mul_f16_sdwa v42, v19, v40 dst_sel:DWORD dst_unused:UNUSED_PAD src0_sel:DWORD src1_sel:WORD_1
	v_fma_f16 v19, v19, v40, v28
	v_mul_f16_sdwa v26, v26, v32 dst_sel:DWORD dst_unused:UNUSED_PAD src0_sel:DWORD src1_sel:WORD_1
	v_add_f16_e32 v31, v29, v20
	v_fma_f16 v17, v17, v32, v26
	v_add_f16_e32 v26, v18, v19
	v_fma_f16 v31, v31, -0.5, v16
	v_fma_f16 v26, v26, -0.5, v17
	v_add_f16_e32 v16, v16, v29
	v_add_f16_e32 v17, v17, v18
	v_fma_f16 v42, v41, v40, -v42
	v_add_f16_e32 v16, v16, v20
	v_add_f16_e32 v17, v17, v19
	;; [unrolled: 1-line block ×3, first 2 shown]
	v_sub_f16_e32 v28, v18, v19
	v_sub_f16_e32 v40, v39, v42
	;; [unrolled: 1-line block ×3, first 2 shown]
	v_add_f16_e32 v19, v0, v43
	v_add_f16_e32 v17, v16, v17
	v_mul_hi_u32 v16, v7, s4
	v_fma_f16 v46, v46, -0.5, v37
	v_fma_f16 v32, v40, s3, v26
	v_fma_f16 v26, v40, s2, v26
	v_fma_f16 v19, v19, -0.5, v25
	v_sub_f16_e32 v20, v29, v20
	v_sub_f16_e32 v36, v0, v43
	v_fma_f16 v34, v28, s2, v46
	v_fma_f16 v28, v28, s3, v46
	;; [unrolled: 1-line block ×4, first 2 shown]
	v_mul_f16_e32 v20, 0x3aee, v26
	v_add_f16_e32 v0, v25, v0
	v_add_f16_e32 v25, v37, v39
	v_fma_f16 v35, v36, s3, v31
	v_fma_f16 v31, v36, s2, v31
	v_mul_f16_e32 v36, 0xbaee, v28
	v_fma_f16 v20, v28, 0.5, v20
	v_add_f16_e32 v0, v0, v43
	v_add_f16_e32 v25, v25, v42
	v_fma_f16 v36, v26, 0.5, v36
	v_sub_f16_e32 v26, v19, v20
	v_sub_f16_e32 v28, v0, v25
	v_add_f16_e32 v19, v19, v20
	v_add_f16_e32 v20, v0, v25
	v_lshrrev_b32_e32 v0, 8, v16
	v_mul_u32_u24_e32 v0, 0x121, v0
	v_sub_u32_e32 v25, v7, v0
	v_mov_b32_e32 v0, s15
	v_addc_co_u32_e32 v16, vcc, v0, v4, vcc
	v_lshlrev_b64 v[0:1], 2, v[1:2]
	v_mul_f16_e32 v41, -0.5, v32
	v_add_co_u32_e32 v4, vcc, v3, v0
	v_addc_co_u32_e32 v16, vcc, v16, v1, vcc
	v_lshlrev_b32_e32 v0, 2, v25
	v_fma_f16 v41, v34, s2, v41
	v_mul_f16_e32 v34, -0.5, v34
	v_add_co_u32_e32 v2, vcc, v4, v0
	v_sub_f16_e32 v40, v31, v36
	v_fma_f16 v32, v32, s3, v34
	v_add_f16_e32 v31, v31, v36
	v_addc_co_u32_e32 v3, vcc, 0, v16, vcc
	v_pack_b32_f16 v0, v20, v17
	v_sub_f16_e32 v49, v35, v41
	v_sub_f16_e32 v34, v29, v32
	v_add_f16_e32 v35, v35, v41
	v_add_f16_e32 v29, v29, v32
	global_store_dword v[2:3], v0, off
	v_pack_b32_f16 v0, v19, v31
	global_store_dword v[2:3], v0, off offset:1156
	v_pack_b32_f16 v0, v29, v35
	v_add_u32_e32 v17, 0x66, v7
	global_store_dword v[2:3], v0, off offset:2312
	v_pack_b32_f16 v0, v28, v18
	v_mul_hi_u32 v18, v17, s4
	global_store_dword v[2:3], v0, off offset:3468
	v_add_co_u32_e32 v2, vcc, s6, v2
	v_pack_b32_f16 v0, v26, v40
	v_addc_co_u32_e32 v3, vcc, 0, v3, vcc
	global_store_dword v[2:3], v0, off offset:528
	v_pack_b32_f16 v0, v34, v49
	global_store_dword v[2:3], v0, off offset:1684
	v_lshrrev_b32_e32 v0, 8, v18
	v_mul_u32_u24_e32 v2, 0x121, v0
	v_sub_u32_e32 v2, v17, v2
	s_movk_i32 s4, 0x6c6
	v_mov_b32_e32 v1, 0
	v_mad_u32_u24 v0, v0, s4, v2
	v_lshlrev_b64 v[2:3], 2, v[0:1]
	v_pack_b32_f16 v17, v30, v22
	v_add_co_u32_e32 v2, vcc, v4, v2
	v_addc_co_u32_e32 v3, vcc, v16, v3, vcc
	global_store_dword v[2:3], v17, off
	v_add_u32_e32 v2, 0x121, v0
	v_mov_b32_e32 v3, v1
	v_lshlrev_b64 v[2:3], 2, v[2:3]
	v_pack_b32_f16 v17, v24, v21
	v_add_co_u32_e32 v2, vcc, v4, v2
	v_addc_co_u32_e32 v3, vcc, v16, v3, vcc
	global_store_dword v[2:3], v17, off
	v_add_u32_e32 v2, 0x242, v0
	v_mov_b32_e32 v3, v1
	;; [unrolled: 7-line block ×4, first 2 shown]
	v_lshlrev_b64 v[2:3], 2, v[2:3]
	v_pack_b32_f16 v17, v48, v45
	v_add_co_u32_e32 v2, vcc, v4, v2
	v_addc_co_u32_e32 v3, vcc, v16, v3, vcc
	v_add_u32_e32 v0, 0x5a5, v0
	global_store_dword v[2:3], v17, off
	v_lshlrev_b64 v[2:3], 2, v[0:1]
	v_pack_b32_f16 v0, v47, v44
	v_add_co_u32_e32 v2, vcc, v4, v2
	v_addc_co_u32_e32 v3, vcc, v16, v3, vcc
	global_store_dword v[2:3], v0, off
	v_add_u32_e32 v2, 0xcc, v7
	v_cmp_gt_u32_e32 vcc, s5, v2
	s_and_b64 exec, exec, vcc
	s_cbranch_execz .LBB0_20
; %bb.19:
	v_mov_b32_e32 v0, 0xffffffab
	v_mov_b32_e32 v3, 0xcc
	v_cndmask_b32_e64 v0, v0, v3, s[0:1]
	v_add_u32_e32 v0, v7, v0
	v_mul_i32_i24_e32 v0, 5, v0
	v_lshlrev_b64 v[17:18], 2, v[0:1]
	v_mov_b32_e32 v0, s9
	v_add_co_u32_e32 v21, vcc, s8, v17
	v_addc_co_u32_e32 v22, vcc, v0, v18, vcc
	global_load_dwordx4 v[17:20], v[21:22], off offset:1088
	global_load_dword v23, v[21:22], off offset:1104
	v_lshrrev_b32_e32 v24, 16, v8
	v_lshrrev_b32_e32 v25, 16, v6
	v_add_u32_e32 v0, 0x1ed, v7
	v_lshlrev_b64 v[21:22], 2, v[0:1]
	v_mov_b32_e32 v3, v1
	v_lshlrev_b64 v[2:3], 2, v[2:3]
	v_add_co_u32_e32 v2, vcc, v4, v2
	v_addc_co_u32_e32 v3, vcc, v16, v3, vcc
	s_waitcnt vmcnt(1)
	v_mul_f16_sdwa v0, v13, v17 dst_sel:DWORD dst_unused:UNUSED_PAD src0_sel:DWORD src1_sel:WORD_1
	v_mul_f16_sdwa v26, v24, v17 dst_sel:DWORD dst_unused:UNUSED_PAD src0_sel:DWORD src1_sel:WORD_1
	;; [unrolled: 1-line block ×6, first 2 shown]
	s_waitcnt vmcnt(0)
	v_mul_f16_sdwa v33, v15, v23 dst_sel:DWORD dst_unused:UNUSED_PAD src0_sel:DWORD src1_sel:WORD_1
	v_mul_f16_sdwa v34, v10, v23 dst_sel:DWORD dst_unused:UNUSED_PAD src0_sel:DWORD src1_sel:WORD_1
	;; [unrolled: 1-line block ×4, first 2 shown]
	v_fma_f16 v0, v24, v17, -v0
	v_fma_f16 v13, v13, v17, v26
	v_fma_f16 v12, v12, v18, v28
	v_fma_f16 v17, v25, v19, -v29
	v_fma_f16 v14, v14, v19, v30
	v_fma_f16 v11, v11, v20, v32
	v_fma_f16 v10, v10, v23, -v33
	v_fma_f16 v15, v15, v23, v34
	v_fma_f16 v8, v8, v18, -v27
	v_fma_f16 v6, v6, v20, -v31
	v_sub_f16_e32 v20, v12, v11
	v_add_f16_e32 v23, v9, v12
	v_add_f16_e32 v12, v12, v11
	;; [unrolled: 1-line block ×3, first 2 shown]
	v_sub_f16_e32 v26, v14, v15
	v_add_f16_e32 v27, v13, v14
	v_add_f16_e32 v14, v14, v15
	;; [unrolled: 1-line block ×4, first 2 shown]
	v_sub_f16_e32 v8, v8, v6
	v_add_f16_e32 v24, v0, v17
	v_sub_f16_e32 v17, v17, v10
	v_fma_f16 v9, v12, -0.5, v9
	v_fma_f16 v0, v25, -0.5, v0
	;; [unrolled: 1-line block ×3, first 2 shown]
	v_add_f16_e32 v6, v18, v6
	v_fma_f16 v5, v19, -0.5, v5
	v_add_f16_e32 v11, v23, v11
	v_add_f16_e32 v10, v24, v10
	;; [unrolled: 1-line block ×3, first 2 shown]
	v_fma_f16 v15, v8, s2, v9
	v_fma_f16 v8, v8, s3, v9
	;; [unrolled: 1-line block ×8, first 2 shown]
	v_add_f16_e32 v17, v6, v10
	v_add_f16_e32 v19, v11, v12
	v_sub_f16_e32 v6, v6, v10
	v_sub_f16_e32 v10, v11, v12
	v_mul_f16_e32 v11, 0x3aee, v18
	v_mul_f16_e32 v12, -0.5, v0
	v_mul_f16_e32 v20, 0xbaee, v9
	v_mul_f16_e32 v23, -0.5, v13
	v_pack_b32_f16 v17, v17, v19
	v_fma_f16 v9, v9, 0.5, v11
	v_fma_f16 v11, v13, s3, v12
	v_fma_f16 v12, v18, 0.5, v20
	v_fma_f16 v0, v0, s2, v23
	global_store_dword v[2:3], v17, off
	v_add_f16_e32 v13, v14, v9
	v_add_f16_e32 v18, v15, v12
	v_add_co_u32_e32 v2, vcc, v4, v21
	v_add_f16_e32 v19, v8, v0
	v_sub_f16_e32 v8, v8, v0
	v_addc_co_u32_e32 v3, vcc, v16, v22, vcc
	v_pack_b32_f16 v0, v13, v18
	global_store_dword v[2:3], v0, off
	v_add_u32_e32 v0, 0x30e, v7
	v_lshlrev_b64 v[2:3], 2, v[0:1]
	v_add_f16_e32 v17, v5, v11
	v_add_co_u32_e32 v2, vcc, v4, v2
	v_addc_co_u32_e32 v3, vcc, v16, v3, vcc
	v_pack_b32_f16 v0, v17, v19
	global_store_dword v[2:3], v0, off
	v_add_u32_e32 v0, 0x42f, v7
	v_lshlrev_b64 v[2:3], 2, v[0:1]
	v_pack_b32_f16 v0, v6, v10
	v_add_co_u32_e32 v2, vcc, v4, v2
	v_addc_co_u32_e32 v3, vcc, v16, v3, vcc
	global_store_dword v[2:3], v0, off
	v_add_u32_e32 v0, 0x550, v7
	v_lshlrev_b64 v[2:3], 2, v[0:1]
	v_sub_f16_e32 v9, v14, v9
	v_sub_f16_e32 v5, v5, v11
	;; [unrolled: 1-line block ×3, first 2 shown]
	v_add_co_u32_e32 v2, vcc, v4, v2
	v_addc_co_u32_e32 v3, vcc, v16, v3, vcc
	v_pack_b32_f16 v0, v9, v11
	global_store_dword v[2:3], v0, off
	v_add_u32_e32 v0, 0x671, v7
	v_lshlrev_b64 v[0:1], 2, v[0:1]
	v_pack_b32_f16 v2, v5, v8
	v_add_co_u32_e32 v0, vcc, v4, v0
	v_addc_co_u32_e32 v1, vcc, v16, v1, vcc
	global_store_dword v[0:1], v2, off
.LBB0_20:
	s_endpgm
	.section	.rodata,"a",@progbits
	.p2align	6, 0x0
	.amdhsa_kernel fft_rtc_fwd_len1734_factors_17_17_6_wgs_102_tpt_102_halfLds_half_op_CI_CI_unitstride_sbrr_dirReg
		.amdhsa_group_segment_fixed_size 0
		.amdhsa_private_segment_fixed_size 0
		.amdhsa_kernarg_size 104
		.amdhsa_user_sgpr_count 6
		.amdhsa_user_sgpr_private_segment_buffer 1
		.amdhsa_user_sgpr_dispatch_ptr 0
		.amdhsa_user_sgpr_queue_ptr 0
		.amdhsa_user_sgpr_kernarg_segment_ptr 1
		.amdhsa_user_sgpr_dispatch_id 0
		.amdhsa_user_sgpr_flat_scratch_init 0
		.amdhsa_user_sgpr_private_segment_size 0
		.amdhsa_uses_dynamic_stack 0
		.amdhsa_system_sgpr_private_segment_wavefront_offset 0
		.amdhsa_system_sgpr_workgroup_id_x 1
		.amdhsa_system_sgpr_workgroup_id_y 0
		.amdhsa_system_sgpr_workgroup_id_z 0
		.amdhsa_system_sgpr_workgroup_info 0
		.amdhsa_system_vgpr_workitem_id 0
		.amdhsa_next_free_vgpr 72
		.amdhsa_next_free_sgpr 71
		.amdhsa_reserve_vcc 1
		.amdhsa_reserve_flat_scratch 0
		.amdhsa_float_round_mode_32 0
		.amdhsa_float_round_mode_16_64 0
		.amdhsa_float_denorm_mode_32 3
		.amdhsa_float_denorm_mode_16_64 3
		.amdhsa_dx10_clamp 1
		.amdhsa_ieee_mode 1
		.amdhsa_fp16_overflow 0
		.amdhsa_exception_fp_ieee_invalid_op 0
		.amdhsa_exception_fp_denorm_src 0
		.amdhsa_exception_fp_ieee_div_zero 0
		.amdhsa_exception_fp_ieee_overflow 0
		.amdhsa_exception_fp_ieee_underflow 0
		.amdhsa_exception_fp_ieee_inexact 0
		.amdhsa_exception_int_div_zero 0
	.end_amdhsa_kernel
	.text
.Lfunc_end0:
	.size	fft_rtc_fwd_len1734_factors_17_17_6_wgs_102_tpt_102_halfLds_half_op_CI_CI_unitstride_sbrr_dirReg, .Lfunc_end0-fft_rtc_fwd_len1734_factors_17_17_6_wgs_102_tpt_102_halfLds_half_op_CI_CI_unitstride_sbrr_dirReg
                                        ; -- End function
	.section	.AMDGPU.csdata,"",@progbits
; Kernel info:
; codeLenInByte = 12652
; NumSgprs: 75
; NumVgprs: 72
; ScratchSize: 0
; MemoryBound: 0
; FloatMode: 240
; IeeeMode: 1
; LDSByteSize: 0 bytes/workgroup (compile time only)
; SGPRBlocks: 9
; VGPRBlocks: 17
; NumSGPRsForWavesPerEU: 75
; NumVGPRsForWavesPerEU: 72
; Occupancy: 3
; WaveLimiterHint : 1
; COMPUTE_PGM_RSRC2:SCRATCH_EN: 0
; COMPUTE_PGM_RSRC2:USER_SGPR: 6
; COMPUTE_PGM_RSRC2:TRAP_HANDLER: 0
; COMPUTE_PGM_RSRC2:TGID_X_EN: 1
; COMPUTE_PGM_RSRC2:TGID_Y_EN: 0
; COMPUTE_PGM_RSRC2:TGID_Z_EN: 0
; COMPUTE_PGM_RSRC2:TIDIG_COMP_CNT: 0
	.type	__hip_cuid_c3c860adec102360,@object ; @__hip_cuid_c3c860adec102360
	.section	.bss,"aw",@nobits
	.globl	__hip_cuid_c3c860adec102360
__hip_cuid_c3c860adec102360:
	.byte	0                               ; 0x0
	.size	__hip_cuid_c3c860adec102360, 1

	.ident	"AMD clang version 19.0.0git (https://github.com/RadeonOpenCompute/llvm-project roc-6.4.0 25133 c7fe45cf4b819c5991fe208aaa96edf142730f1d)"
	.section	".note.GNU-stack","",@progbits
	.addrsig
	.addrsig_sym __hip_cuid_c3c860adec102360
	.amdgpu_metadata
---
amdhsa.kernels:
  - .args:
      - .actual_access:  read_only
        .address_space:  global
        .offset:         0
        .size:           8
        .value_kind:     global_buffer
      - .offset:         8
        .size:           8
        .value_kind:     by_value
      - .actual_access:  read_only
        .address_space:  global
        .offset:         16
        .size:           8
        .value_kind:     global_buffer
      - .actual_access:  read_only
        .address_space:  global
        .offset:         24
        .size:           8
        .value_kind:     global_buffer
      - .actual_access:  read_only
        .address_space:  global
        .offset:         32
        .size:           8
        .value_kind:     global_buffer
      - .offset:         40
        .size:           8
        .value_kind:     by_value
      - .actual_access:  read_only
        .address_space:  global
        .offset:         48
        .size:           8
        .value_kind:     global_buffer
      - .actual_access:  read_only
        .address_space:  global
        .offset:         56
        .size:           8
        .value_kind:     global_buffer
      - .offset:         64
        .size:           4
        .value_kind:     by_value
      - .actual_access:  read_only
        .address_space:  global
        .offset:         72
        .size:           8
        .value_kind:     global_buffer
      - .actual_access:  read_only
        .address_space:  global
        .offset:         80
        .size:           8
        .value_kind:     global_buffer
      - .actual_access:  read_only
        .address_space:  global
        .offset:         88
        .size:           8
        .value_kind:     global_buffer
      - .actual_access:  write_only
        .address_space:  global
        .offset:         96
        .size:           8
        .value_kind:     global_buffer
    .group_segment_fixed_size: 0
    .kernarg_segment_align: 8
    .kernarg_segment_size: 104
    .language:       OpenCL C
    .language_version:
      - 2
      - 0
    .max_flat_workgroup_size: 102
    .name:           fft_rtc_fwd_len1734_factors_17_17_6_wgs_102_tpt_102_halfLds_half_op_CI_CI_unitstride_sbrr_dirReg
    .private_segment_fixed_size: 0
    .sgpr_count:     75
    .sgpr_spill_count: 0
    .symbol:         fft_rtc_fwd_len1734_factors_17_17_6_wgs_102_tpt_102_halfLds_half_op_CI_CI_unitstride_sbrr_dirReg.kd
    .uniform_work_group_size: 1
    .uses_dynamic_stack: false
    .vgpr_count:     72
    .vgpr_spill_count: 0
    .wavefront_size: 64
amdhsa.target:   amdgcn-amd-amdhsa--gfx906
amdhsa.version:
  - 1
  - 2
...

	.end_amdgpu_metadata
